;; amdgpu-corpus repo=ROCm/rocFFT kind=compiled arch=gfx950 opt=O3
	.text
	.amdgcn_target "amdgcn-amd-amdhsa--gfx950"
	.amdhsa_code_object_version 6
	.protected	fft_rtc_back_len4000_factors_10_10_10_4_wgs_200_tpt_200_halfLds_half_op_CI_CI_unitstride_sbrr_R2C_dirReg ; -- Begin function fft_rtc_back_len4000_factors_10_10_10_4_wgs_200_tpt_200_halfLds_half_op_CI_CI_unitstride_sbrr_R2C_dirReg
	.globl	fft_rtc_back_len4000_factors_10_10_10_4_wgs_200_tpt_200_halfLds_half_op_CI_CI_unitstride_sbrr_R2C_dirReg
	.p2align	8
	.type	fft_rtc_back_len4000_factors_10_10_10_4_wgs_200_tpt_200_halfLds_half_op_CI_CI_unitstride_sbrr_R2C_dirReg,@function
fft_rtc_back_len4000_factors_10_10_10_4_wgs_200_tpt_200_halfLds_half_op_CI_CI_unitstride_sbrr_R2C_dirReg: ; @fft_rtc_back_len4000_factors_10_10_10_4_wgs_200_tpt_200_halfLds_half_op_CI_CI_unitstride_sbrr_R2C_dirReg
; %bb.0:
	s_load_dwordx4 s[4:7], s[0:1], 0x58
	s_load_dwordx4 s[8:11], s[0:1], 0x0
	;; [unrolled: 1-line block ×3, first 2 shown]
	v_mul_u32_u24_e32 v1, 0x148, v0
	v_add_u32_sdwa v6, s2, v1 dst_sel:DWORD dst_unused:UNUSED_PAD src0_sel:DWORD src1_sel:WORD_1
	v_mov_b32_e32 v4, 0
	s_waitcnt lgkmcnt(0)
	v_cmp_lt_u64_e64 s[2:3], s[10:11], 2
	v_mov_b32_e32 v7, v4
	s_and_b64 vcc, exec, s[2:3]
	v_mov_b64_e32 v[2:3], 0
	s_cbranch_vccnz .LBB0_8
; %bb.1:
	s_load_dwordx2 s[2:3], s[0:1], 0x10
	s_add_u32 s16, s14, 8
	s_addc_u32 s17, s15, 0
	s_add_u32 s18, s12, 8
	s_addc_u32 s19, s13, 0
	s_waitcnt lgkmcnt(0)
	s_add_u32 s20, s2, 8
	v_mov_b64_e32 v[2:3], 0
	s_addc_u32 s21, s3, 0
	s_mov_b64 s[22:23], 1
	v_mov_b64_e32 v[16:17], v[2:3]
.LBB0_2:                                ; =>This Inner Loop Header: Depth=1
	s_load_dwordx2 s[24:25], s[20:21], 0x0
                                        ; implicit-def: $vgpr20_vgpr21
	s_waitcnt lgkmcnt(0)
	v_or_b32_e32 v5, s25, v7
	v_cmp_ne_u64_e32 vcc, 0, v[4:5]
	s_and_saveexec_b64 s[2:3], vcc
	s_xor_b64 s[26:27], exec, s[2:3]
	s_cbranch_execz .LBB0_4
; %bb.3:                                ;   in Loop: Header=BB0_2 Depth=1
	v_cvt_f32_u32_e32 v1, s24
	v_cvt_f32_u32_e32 v5, s25
	s_sub_u32 s2, 0, s24
	s_subb_u32 s3, 0, s25
	v_fmac_f32_e32 v1, 0x4f800000, v5
	v_rcp_f32_e32 v1, v1
	s_nop 0
	v_mul_f32_e32 v1, 0x5f7ffffc, v1
	v_mul_f32_e32 v5, 0x2f800000, v1
	v_trunc_f32_e32 v5, v5
	v_fmac_f32_e32 v1, 0xcf800000, v5
	v_cvt_u32_f32_e32 v5, v5
	v_cvt_u32_f32_e32 v1, v1
	v_mul_lo_u32 v8, s2, v5
	v_mul_hi_u32 v10, s2, v1
	v_mul_lo_u32 v9, s3, v1
	v_add_u32_e32 v10, v10, v8
	v_mul_lo_u32 v12, s2, v1
	v_add_u32_e32 v13, v10, v9
	v_mul_hi_u32 v8, v1, v12
	v_mul_hi_u32 v11, v1, v13
	v_mul_lo_u32 v10, v1, v13
	v_mov_b32_e32 v9, v4
	v_lshl_add_u64 v[8:9], v[8:9], 0, v[10:11]
	v_mul_hi_u32 v11, v5, v12
	v_mul_lo_u32 v12, v5, v12
	v_add_co_u32_e32 v8, vcc, v8, v12
	v_mul_hi_u32 v10, v5, v13
	s_nop 0
	v_addc_co_u32_e32 v8, vcc, v9, v11, vcc
	v_mov_b32_e32 v9, v4
	s_nop 0
	v_addc_co_u32_e32 v11, vcc, 0, v10, vcc
	v_mul_lo_u32 v10, v5, v13
	v_lshl_add_u64 v[8:9], v[8:9], 0, v[10:11]
	v_add_co_u32_e32 v1, vcc, v1, v8
	v_mul_lo_u32 v10, s2, v1
	s_nop 0
	v_addc_co_u32_e32 v5, vcc, v5, v9, vcc
	v_mul_lo_u32 v8, s2, v5
	v_mul_hi_u32 v9, s2, v1
	v_add_u32_e32 v8, v9, v8
	v_mul_lo_u32 v9, s3, v1
	v_add_u32_e32 v12, v8, v9
	v_mul_hi_u32 v14, v5, v10
	v_mul_lo_u32 v15, v5, v10
	v_mul_hi_u32 v9, v1, v12
	v_mul_lo_u32 v8, v1, v12
	v_mul_hi_u32 v10, v1, v10
	v_mov_b32_e32 v11, v4
	v_lshl_add_u64 v[8:9], v[10:11], 0, v[8:9]
	v_add_co_u32_e32 v8, vcc, v8, v15
	v_mul_hi_u32 v13, v5, v12
	s_nop 0
	v_addc_co_u32_e32 v8, vcc, v9, v14, vcc
	v_mul_lo_u32 v10, v5, v12
	s_nop 0
	v_addc_co_u32_e32 v11, vcc, 0, v13, vcc
	v_mov_b32_e32 v9, v4
	v_lshl_add_u64 v[8:9], v[8:9], 0, v[10:11]
	v_add_co_u32_e32 v1, vcc, v1, v8
	v_mul_hi_u32 v10, v6, v1
	s_nop 0
	v_addc_co_u32_e32 v5, vcc, v5, v9, vcc
	v_mad_u64_u32 v[8:9], s[2:3], v6, v5, 0
	v_mov_b32_e32 v11, v4
	v_lshl_add_u64 v[8:9], v[10:11], 0, v[8:9]
	v_mad_u64_u32 v[12:13], s[2:3], v7, v1, 0
	v_add_co_u32_e32 v1, vcc, v8, v12
	v_mad_u64_u32 v[10:11], s[2:3], v7, v5, 0
	s_nop 0
	v_addc_co_u32_e32 v8, vcc, v9, v13, vcc
	v_mov_b32_e32 v9, v4
	s_nop 0
	v_addc_co_u32_e32 v11, vcc, 0, v11, vcc
	v_lshl_add_u64 v[8:9], v[8:9], 0, v[10:11]
	v_mul_lo_u32 v1, s25, v8
	v_mul_lo_u32 v5, s24, v9
	v_mad_u64_u32 v[10:11], s[2:3], s24, v8, 0
	v_add3_u32 v1, v11, v5, v1
	v_sub_u32_e32 v5, v7, v1
	v_mov_b32_e32 v11, s25
	v_sub_co_u32_e32 v14, vcc, v6, v10
	v_lshl_add_u64 v[12:13], v[8:9], 0, 1
	s_nop 0
	v_subb_co_u32_e64 v5, s[2:3], v5, v11, vcc
	v_subrev_co_u32_e64 v10, s[2:3], s24, v14
	v_subb_co_u32_e32 v1, vcc, v7, v1, vcc
	s_nop 0
	v_subbrev_co_u32_e64 v5, s[2:3], 0, v5, s[2:3]
	v_cmp_le_u32_e64 s[2:3], s25, v5
	v_cmp_le_u32_e32 vcc, s25, v1
	s_nop 0
	v_cndmask_b32_e64 v11, 0, -1, s[2:3]
	v_cmp_le_u32_e64 s[2:3], s24, v10
	s_nop 1
	v_cndmask_b32_e64 v10, 0, -1, s[2:3]
	v_cmp_eq_u32_e64 s[2:3], s25, v5
	s_nop 1
	v_cndmask_b32_e64 v5, v11, v10, s[2:3]
	v_lshl_add_u64 v[10:11], v[8:9], 0, 2
	v_cmp_ne_u32_e64 s[2:3], 0, v5
	s_nop 1
	v_cndmask_b32_e64 v5, v13, v11, s[2:3]
	v_cndmask_b32_e64 v11, 0, -1, vcc
	v_cmp_le_u32_e32 vcc, s24, v14
	s_nop 1
	v_cndmask_b32_e64 v13, 0, -1, vcc
	v_cmp_eq_u32_e32 vcc, s25, v1
	s_nop 1
	v_cndmask_b32_e32 v1, v11, v13, vcc
	v_cmp_ne_u32_e32 vcc, 0, v1
	v_cndmask_b32_e64 v1, v12, v10, s[2:3]
	s_nop 0
	v_cndmask_b32_e32 v21, v9, v5, vcc
	v_cndmask_b32_e32 v20, v8, v1, vcc
.LBB0_4:                                ;   in Loop: Header=BB0_2 Depth=1
	s_andn2_saveexec_b64 s[2:3], s[26:27]
	s_cbranch_execz .LBB0_6
; %bb.5:                                ;   in Loop: Header=BB0_2 Depth=1
	v_cvt_f32_u32_e32 v1, s24
	s_sub_i32 s26, 0, s24
	v_mov_b32_e32 v21, v4
	v_rcp_iflag_f32_e32 v1, v1
	s_nop 0
	v_mul_f32_e32 v1, 0x4f7ffffe, v1
	v_cvt_u32_f32_e32 v1, v1
	v_mul_lo_u32 v5, s26, v1
	v_mul_hi_u32 v5, v1, v5
	v_add_u32_e32 v1, v1, v5
	v_mul_hi_u32 v1, v6, v1
	v_mul_lo_u32 v5, v1, s24
	v_sub_u32_e32 v5, v6, v5
	v_add_u32_e32 v8, 1, v1
	v_subrev_u32_e32 v9, s24, v5
	v_cmp_le_u32_e32 vcc, s24, v5
	s_nop 1
	v_cndmask_b32_e32 v5, v5, v9, vcc
	v_cndmask_b32_e32 v1, v1, v8, vcc
	v_add_u32_e32 v8, 1, v1
	v_cmp_le_u32_e32 vcc, s24, v5
	s_nop 1
	v_cndmask_b32_e32 v20, v1, v8, vcc
.LBB0_6:                                ;   in Loop: Header=BB0_2 Depth=1
	s_or_b64 exec, exec, s[2:3]
	v_mad_u64_u32 v[8:9], s[2:3], v20, s24, 0
	s_load_dwordx2 s[2:3], s[18:19], 0x0
	v_mul_lo_u32 v1, v21, s24
	v_mul_lo_u32 v5, v20, s25
	s_load_dwordx2 s[24:25], s[16:17], 0x0
	s_add_u32 s22, s22, 1
	v_add3_u32 v1, v9, v5, v1
	v_sub_co_u32_e32 v5, vcc, v6, v8
	s_addc_u32 s23, s23, 0
	s_nop 0
	v_subb_co_u32_e32 v1, vcc, v7, v1, vcc
	s_add_u32 s16, s16, 8
	s_waitcnt lgkmcnt(0)
	v_mul_lo_u32 v6, s2, v1
	v_mul_lo_u32 v7, s3, v5
	v_mad_u64_u32 v[2:3], s[2:3], s2, v5, v[2:3]
	s_addc_u32 s17, s17, 0
	v_add3_u32 v3, v7, v3, v6
	v_mul_lo_u32 v1, s24, v1
	v_mul_lo_u32 v6, s25, v5
	v_mad_u64_u32 v[16:17], s[2:3], s24, v5, v[16:17]
	s_add_u32 s18, s18, 8
	v_add3_u32 v17, v6, v17, v1
	s_addc_u32 s19, s19, 0
	v_mov_b64_e32 v[6:7], s[10:11]
	s_add_u32 s20, s20, 8
	v_cmp_ge_u64_e32 vcc, s[22:23], v[6:7]
	s_addc_u32 s21, s21, 0
	s_cbranch_vccnz .LBB0_9
; %bb.7:                                ;   in Loop: Header=BB0_2 Depth=1
	v_mov_b64_e32 v[6:7], v[20:21]
	s_branch .LBB0_2
.LBB0_8:
	v_mov_b64_e32 v[16:17], v[2:3]
	v_mov_b64_e32 v[20:21], v[6:7]
.LBB0_9:
	s_load_dwordx2 s[18:19], s[0:1], 0x28
	s_lshl_b64 s[16:17], s[10:11], 3
	s_add_u32 s2, s14, s16
	s_addc_u32 s3, s15, s17
                                        ; implicit-def: $vgpr18
                                        ; implicit-def: $vgpr22
                                        ; implicit-def: $vgpr28
                                        ; implicit-def: $vgpr24
                                        ; implicit-def: $vgpr26
	s_waitcnt lgkmcnt(0)
	v_cmp_gt_u64_e64 s[0:1], s[18:19], v[20:21]
	v_cmp_le_u64_e32 vcc, s[18:19], v[20:21]
	s_and_saveexec_b64 s[10:11], vcc
	s_xor_b64 s[10:11], exec, s[10:11]
; %bb.10:
	s_mov_b32 s14, 0x147ae15
	v_mul_hi_u32 v1, v0, s14
	v_mul_u32_u24_e32 v1, 0xc8, v1
	v_sub_u32_e32 v18, v0, v1
	v_add_u32_e32 v22, 0xc8, v18
	v_add_u32_e32 v28, 0x190, v18
	;; [unrolled: 1-line block ×4, first 2 shown]
                                        ; implicit-def: $vgpr0
                                        ; implicit-def: $vgpr2_vgpr3
; %bb.11:
	s_andn2_saveexec_b64 s[10:11], s[10:11]
	s_cbranch_execz .LBB0_13
; %bb.12:
	s_add_u32 s12, s12, s16
	s_addc_u32 s13, s13, s17
	s_load_dwordx2 s[12:13], s[12:13], 0x0
	s_mov_b32 s14, 0x147ae15
	s_waitcnt lgkmcnt(0)
	v_mul_lo_u32 v1, s13, v20
	v_mul_lo_u32 v6, s12, v21
	v_mad_u64_u32 v[4:5], s[12:13], s12, v20, 0
	v_add3_u32 v5, v5, v6, v1
	v_mul_hi_u32 v1, v0, s14
	v_mul_u32_u24_e32 v1, 0xc8, v1
	v_sub_u32_e32 v18, v0, v1
	v_lshl_add_u64 v[0:1], v[4:5], 2, s[4:5]
	v_lshl_add_u64 v[0:1], v[2:3], 2, v[0:1]
	v_lshlrev_b32_e32 v2, 2, v18
	v_mov_b32_e32 v3, 0
	v_lshl_add_u64 v[0:1], v[0:1], 0, v[2:3]
	s_movk_i32 s4, 0x1000
	v_add_co_u32_e32 v4, vcc, s4, v0
	s_movk_i32 s4, 0x2000
	s_nop 0
	v_addc_co_u32_e32 v5, vcc, 0, v1, vcc
	v_add_co_u32_e32 v6, vcc, s4, v0
	global_load_dword v3, v[0:1], off
	global_load_dword v8, v[0:1], off offset:800
	global_load_dword v9, v[0:1], off offset:1600
	global_load_dword v10, v[0:1], off offset:2400
	global_load_dword v11, v[0:1], off offset:3200
	global_load_dword v12, v[0:1], off offset:4000
	global_load_dword v13, v[4:5], off offset:704
	global_load_dword v14, v[4:5], off offset:1504
	v_addc_co_u32_e32 v7, vcc, 0, v1, vcc
	v_add_co_u32_e32 v0, vcc, 0x3000, v0
	global_load_dword v15, v[4:5], off offset:2304
	global_load_dword v19, v[4:5], off offset:3104
	;; [unrolled: 1-line block ×8, first 2 shown]
	v_addc_co_u32_e32 v1, vcc, 0, v1, vcc
	global_load_dword v4, v[0:1], off offset:512
	global_load_dword v5, v[0:1], off offset:1312
	;; [unrolled: 1-line block ×4, first 2 shown]
	v_add_u32_e32 v22, 0xc8, v18
	v_add_u32_e32 v28, 0x190, v18
	;; [unrolled: 1-line block ×14, first 2 shown]
	s_waitcnt vmcnt(18)
	ds_write2_b32 v0, v3, v8 offset1:200
	s_waitcnt vmcnt(16)
	ds_write2_b32 v1, v9, v10 offset0:16 offset1:216
	s_waitcnt vmcnt(14)
	ds_write2_b32 v2, v11, v12 offset0:32 offset1:232
	;; [unrolled: 2-line block ×3, first 2 shown]
	s_waitcnt vmcnt(10)
	ds_write2_b32 v33, v15, v19 offset1:200
	s_waitcnt vmcnt(8)
	ds_write2_b32 v34, v23, v25 offset0:16 offset1:216
	s_waitcnt vmcnt(6)
	ds_write2_b32 v35, v27, v29 offset0:32 offset1:232
	;; [unrolled: 2-line block ×3, first 2 shown]
	s_waitcnt vmcnt(2)
	ds_write2_b32 v37, v4, v5 offset1:200
	s_waitcnt vmcnt(0)
	ds_write2_b32 v38, v6, v7 offset0:16 offset1:216
.LBB0_13:
	s_or_b64 exec, exec, s[10:11]
	v_lshlrev_b32_e32 v19, 2, v18
	v_add_u32_e32 v40, 0, v19
	v_mul_i32_i24_e32 v0, 10, v22
	v_lshl_add_u32 v25, v0, 2, 0
	v_add_u32_e32 v0, 0x600, v40
	v_add_u32_e32 v2, 0x1900, v40
	;; [unrolled: 1-line block ×3, first 2 shown]
	s_load_dwordx2 s[2:3], s[2:3], 0x0
	s_waitcnt lgkmcnt(0)
	s_barrier
	ds_read2_b32 v[6:7], v0 offset0:16 offset1:216
	v_add_u32_e32 v0, 0xc00, v40
	ds_read2_b32 v[14:15], v2 offset1:200
	ds_read2_b32 v[30:31], v4 offset0:32 offset1:232
	v_add_u32_e32 v8, 0x3200, v40
	ds_read2_b32 v[10:11], v40 offset1:200
	ds_read2_b32 v[12:13], v0 offset0:32 offset1:232
	ds_read2_b32 v[32:33], v8 offset1:200
	s_waitcnt lgkmcnt(3)
	v_add_f16_e32 v27, v15, v31
	s_mov_b32 s11, 0xbb9c
	s_waitcnt lgkmcnt(2)
	v_fma_f16 v27, v27, -0.5, v11
	s_movk_i32 s5, 0x3b9c
	s_waitcnt lgkmcnt(0)
	v_sub_f16_sdwa v29, v13, v33 dst_sel:DWORD dst_unused:UNUSED_PAD src0_sel:WORD_1 src1_sel:WORD_1
	v_fma_f16 v34, v29, s11, v27
	v_sub_f16_sdwa v35, v15, v31 dst_sel:DWORD dst_unused:UNUSED_PAD src0_sel:WORD_1 src1_sel:WORD_1
	s_mov_b32 s12, 0xb8b4
	v_sub_f16_e32 v36, v33, v31
	v_sub_f16_e32 v37, v13, v15
	v_fma_f16 v27, v29, s5, v27
	s_movk_i32 s4, 0x38b4
	v_fma_f16 v34, v35, s12, v34
	v_add_f16_e32 v36, v37, v36
	s_movk_i32 s10, 0x34f2
	v_fma_f16 v27, v35, s4, v27
	v_fma_f16 v34, v36, s10, v34
	;; [unrolled: 1-line block ×3, first 2 shown]
	v_add_f16_e32 v36, v13, v33
	v_fma_f16 v36, v36, -0.5, v11
	v_fma_f16 v37, v35, s5, v36
	v_sub_f16_e32 v38, v31, v33
	v_sub_f16_e32 v39, v15, v13
	v_fma_f16 v35, v35, s11, v36
	v_fma_f16 v37, v29, s12, v37
	v_add_f16_e32 v38, v39, v38
	v_fma_f16 v29, v29, s4, v35
	v_pk_add_f16 v35, v11, v13
	v_add_f16_sdwa v36, v15, v31 dst_sel:DWORD dst_unused:UNUSED_PAD src0_sel:WORD_1 src1_sel:WORD_1
	v_lshrrev_b32_e32 v11, 16, v11
	v_fma_f16 v37, v38, s10, v37
	v_fma_f16 v29, v38, s10, v29
	v_fma_f16 v36, v36, -0.5, v11
	v_sub_f16_e32 v38, v13, v33
	v_add_u32_e32 v2, 0x1f00, v40
	v_add_u32_e32 v4, 0x2b00, v40
	v_fma_f16 v39, v38, s5, v36
	v_sub_f16_e32 v41, v15, v31
	v_sub_f16_sdwa v42, v13, v15 dst_sel:DWORD dst_unused:UNUSED_PAD src0_sel:WORD_1 src1_sel:WORD_1
	v_sub_f16_sdwa v43, v33, v31 dst_sel:DWORD dst_unused:UNUSED_PAD src0_sel:WORD_1 src1_sel:WORD_1
	v_fma_f16 v36, v38, s11, v36
	v_add_u32_e32 v0, 0x1200, v40
	ds_read2_b32 v[2:3], v2 offset0:16 offset1:216
	ds_read2_b32 v[4:5], v4 offset0:48 offset1:248
	v_add_u32_e32 v8, 0x3800, v40
	v_fma_f16 v39, v41, s4, v39
	v_add_f16_e32 v42, v42, v43
	v_fma_f16 v36, v41, s12, v36
	ds_read2_b32 v[0:1], v0 offset0:48 offset1:248
	ds_read2_b32 v[8:9], v8 offset0:16 offset1:216
	v_fma_f16 v39, v42, s10, v39
	v_fma_f16 v36, v42, s10, v36
	v_add_f16_sdwa v42, v13, v33 dst_sel:DWORD dst_unused:UNUSED_PAD src0_sel:WORD_1 src1_sel:WORD_1
	v_fma_f16 v11, v42, -0.5, v11
	v_pk_add_f16 v35, v35, v15
	v_fma_f16 v42, v41, s11, v11
	v_sub_f16_sdwa v13, v15, v13 dst_sel:DWORD dst_unused:UNUSED_PAD src0_sel:WORD_1 src1_sel:WORD_1
	v_sub_f16_sdwa v15, v31, v33 dst_sel:DWORD dst_unused:UNUSED_PAD src0_sel:WORD_1 src1_sel:WORD_1
	v_fma_f16 v11, v41, s5, v11
	v_fma_f16 v42, v38, s4, v42
	v_add_f16_e32 v13, v13, v15
	v_fma_f16 v11, v38, s12, v11
	v_fma_f16 v15, v13, s10, v42
	v_fma_f16 v11, v13, s10, v11
	s_waitcnt lgkmcnt(2)
	v_add_f16_e32 v13, v3, v5
	v_pk_add_f16 v35, v35, v31
	v_fma_f16 v13, v13, -0.5, v7
	s_waitcnt lgkmcnt(0)
	v_sub_f16_sdwa v31, v1, v9 dst_sel:DWORD dst_unused:UNUSED_PAD src0_sel:WORD_1 src1_sel:WORD_1
	v_pk_add_f16 v35, v35, v33
	v_fma_f16 v33, v31, s11, v13
	v_sub_f16_sdwa v38, v3, v5 dst_sel:DWORD dst_unused:UNUSED_PAD src0_sel:WORD_1 src1_sel:WORD_1
	v_sub_f16_e32 v41, v9, v5
	v_sub_f16_e32 v42, v1, v3
	v_fma_f16 v13, v31, s5, v13
	v_fma_f16 v33, v38, s12, v33
	v_add_f16_e32 v41, v42, v41
	v_fma_f16 v13, v38, s4, v13
	v_fma_f16 v33, v41, s10, v33
	;; [unrolled: 1-line block ×3, first 2 shown]
	v_add_f16_e32 v41, v1, v9
	v_fma_f16 v41, v41, -0.5, v7
	v_fma_f16 v42, v38, s5, v41
	v_sub_f16_e32 v43, v5, v9
	v_sub_f16_e32 v44, v3, v1
	v_fma_f16 v38, v38, s11, v41
	v_fma_f16 v42, v31, s12, v42
	v_add_f16_e32 v43, v44, v43
	v_fma_f16 v31, v31, s4, v38
	v_add_f16_sdwa v38, v3, v5 dst_sel:DWORD dst_unused:UNUSED_PAD src0_sel:WORD_1 src1_sel:WORD_1
	v_lshrrev_b32_e32 v41, 16, v7
	v_fma_f16 v42, v43, s10, v42
	v_fma_f16 v31, v43, s10, v31
	v_fma_f16 v38, v38, -0.5, v41
	v_sub_f16_e32 v43, v1, v9
	v_fma_f16 v44, v43, s5, v38
	v_sub_f16_e32 v45, v3, v5
	v_sub_f16_sdwa v46, v1, v3 dst_sel:DWORD dst_unused:UNUSED_PAD src0_sel:WORD_1 src1_sel:WORD_1
	v_sub_f16_sdwa v47, v9, v5 dst_sel:DWORD dst_unused:UNUSED_PAD src0_sel:WORD_1 src1_sel:WORD_1
	v_fma_f16 v38, v43, s11, v38
	v_fma_f16 v44, v45, s4, v44
	v_add_f16_e32 v46, v46, v47
	v_fma_f16 v38, v45, s12, v38
	v_fma_f16 v44, v46, s10, v44
	;; [unrolled: 1-line block ×3, first 2 shown]
	v_add_f16_sdwa v46, v1, v9 dst_sel:DWORD dst_unused:UNUSED_PAD src0_sel:WORD_1 src1_sel:WORD_1
	v_fma_f16 v41, v46, -0.5, v41
	v_fma_f16 v46, v45, s11, v41
	v_sub_f16_sdwa v47, v3, v1 dst_sel:DWORD dst_unused:UNUSED_PAD src0_sel:WORD_1 src1_sel:WORD_1
	v_sub_f16_sdwa v48, v5, v9 dst_sel:DWORD dst_unused:UNUSED_PAD src0_sel:WORD_1 src1_sel:WORD_1
	v_fma_f16 v41, v45, s5, v41
	v_add_f16_e32 v47, v47, v48
	v_fma_f16 v41, v43, s12, v41
	v_fma_f16 v41, v47, s10, v41
	;; [unrolled: 1-line block ×3, first 2 shown]
	v_mul_f16_e32 v49, 0xbb9c, v41
	s_mov_b32 s13, 0xb4f2
	v_mul_f16_e32 v41, 0xb4f2, v41
	v_fma_f16 v46, v47, s10, v46
	v_mul_f16_e32 v43, 0xb8b4, v44
	s_movk_i32 s15, 0x3a79
	v_fma_f16 v49, v31, s13, v49
	v_mul_f16_e32 v51, 0xb8b4, v38
	s_mov_b32 s14, 0xba79
	v_fma_f16 v31, v31, s5, v41
	v_mul_f16_e32 v38, 0xba79, v38
	v_fma_f16 v43, v33, s15, v43
	v_mul_f16_e32 v47, 0xbb9c, v46
	;; [unrolled: 2-line block ×3, first 2 shown]
	v_mul_f16_e32 v46, 0x34f2, v46
	v_add_f16_e32 v41, v11, v31
	v_fma_f16 v13, v13, s4, v38
	v_sub_f16_e32 v11, v11, v31
	v_add_f16_e32 v31, v14, v30
	v_fma_f16 v47, v42, s10, v47
	v_fma_f16 v33, v44, s15, v33
	;; [unrolled: 1-line block ×3, first 2 shown]
	v_add_f16_e32 v38, v36, v13
	v_sub_f16_e32 v13, v36, v13
	v_fma_f16 v31, v31, -0.5, v10
	v_sub_f16_sdwa v36, v12, v32 dst_sel:DWORD dst_unused:UNUSED_PAD src0_sel:WORD_1 src1_sel:WORD_1
	v_add_f16_e32 v45, v34, v43
	v_add_f16_e32 v48, v37, v47
	;; [unrolled: 1-line block ×4, first 2 shown]
	v_sub_f16_e32 v34, v34, v43
	v_sub_f16_e32 v37, v37, v47
	;; [unrolled: 1-line block ×4, first 2 shown]
	v_fma_f16 v39, v36, s11, v31
	v_sub_f16_sdwa v42, v14, v30 dst_sel:DWORD dst_unused:UNUSED_PAD src0_sel:WORD_1 src1_sel:WORD_1
	v_sub_f16_e32 v43, v32, v30
	v_sub_f16_e32 v47, v12, v14
	v_fma_f16 v31, v36, s5, v31
	v_fma_f16 v39, v42, s12, v39
	v_add_f16_e32 v43, v47, v43
	v_fma_f16 v31, v42, s4, v31
	v_fma_f16 v39, v43, s10, v39
	;; [unrolled: 1-line block ×3, first 2 shown]
	v_add_f16_e32 v43, v12, v32
	v_fma_f16 v43, v43, -0.5, v10
	v_add_f16_e32 v50, v29, v49
	v_add_f16_e32 v52, v27, v51
	v_sub_f16_e32 v29, v29, v49
	v_sub_f16_e32 v27, v27, v51
	v_fma_f16 v47, v42, s5, v43
	v_sub_f16_e32 v49, v30, v32
	v_sub_f16_e32 v51, v14, v12
	v_fma_f16 v42, v42, s11, v43
	v_fma_f16 v47, v36, s12, v47
	v_add_f16_e32 v49, v51, v49
	v_fma_f16 v36, v36, s4, v42
	v_pk_add_f16 v42, v10, v12
	v_add_f16_sdwa v43, v14, v30 dst_sel:DWORD dst_unused:UNUSED_PAD src0_sel:WORD_1 src1_sel:WORD_1
	v_lshrrev_b32_e32 v10, 16, v10
	v_fma_f16 v47, v49, s10, v47
	v_fma_f16 v36, v49, s10, v36
	v_fma_f16 v43, v43, -0.5, v10
	v_sub_f16_e32 v49, v12, v32
	v_sub_f16_sdwa v53, v12, v14 dst_sel:DWORD dst_unused:UNUSED_PAD src0_sel:WORD_1 src1_sel:WORD_1
	v_sub_f16_sdwa v54, v32, v30 dst_sel:DWORD dst_unused:UNUSED_PAD src0_sel:WORD_1 src1_sel:WORD_1
	v_fma_f16 v51, v49, s5, v43
	v_add_f16_e32 v53, v53, v54
	v_sub_f16_e32 v54, v14, v30
	v_fma_f16 v43, v49, s11, v43
	v_pk_add_f16 v1, v7, v1
	v_fma_f16 v51, v54, s4, v51
	v_fma_f16 v43, v54, s12, v43
	v_pk_add_f16 v1, v1, v3
	v_fma_f16 v51, v53, s10, v51
	v_fma_f16 v43, v53, s10, v43
	v_add_f16_sdwa v53, v12, v32 dst_sel:DWORD dst_unused:UNUSED_PAD src0_sel:WORD_1 src1_sel:WORD_1
	v_pk_add_f16 v1, v1, v5
	v_fma_f16 v10, v53, -0.5, v10
	v_pk_add_f16 v1, v1, v9
	v_sub_f16_sdwa v5, v14, v12 dst_sel:DWORD dst_unused:UNUSED_PAD src0_sel:WORD_1 src1_sel:WORD_1
	v_sub_f16_sdwa v9, v30, v32 dst_sel:DWORD dst_unused:UNUSED_PAD src0_sel:WORD_1 src1_sel:WORD_1
	v_fma_f16 v7, v54, s11, v10
	v_add_f16_e32 v5, v5, v9
	v_fma_f16 v9, v54, s5, v10
	v_fma_f16 v7, v49, s4, v7
	;; [unrolled: 1-line block ×3, first 2 shown]
	v_pk_add_f16 v3, v42, v14
	v_fma_f16 v7, v5, s10, v7
	v_fma_f16 v5, v5, s10, v9
	v_add_f16_e32 v9, v2, v4
	v_pk_add_f16 v3, v3, v30
	v_fma_f16 v9, v9, -0.5, v6
	v_sub_f16_sdwa v10, v0, v8 dst_sel:DWORD dst_unused:UNUSED_PAD src0_sel:WORD_1 src1_sel:WORD_1
	v_pk_add_f16 v3, v3, v32
	v_fma_f16 v12, v10, s11, v9
	v_sub_f16_sdwa v14, v2, v4 dst_sel:DWORD dst_unused:UNUSED_PAD src0_sel:WORD_1 src1_sel:WORD_1
	v_sub_f16_e32 v30, v8, v4
	v_sub_f16_e32 v32, v0, v2
	v_fma_f16 v9, v10, s5, v9
	v_fma_f16 v12, v14, s12, v12
	v_add_f16_e32 v30, v32, v30
	v_fma_f16 v9, v14, s4, v9
	v_fma_f16 v12, v30, s10, v12
	;; [unrolled: 1-line block ×3, first 2 shown]
	v_add_f16_e32 v30, v0, v8
	v_fma_f16 v30, v30, -0.5, v6
	v_fma_f16 v32, v14, s5, v30
	v_sub_f16_e32 v42, v4, v8
	v_sub_f16_e32 v49, v2, v0
	v_fma_f16 v14, v14, s11, v30
	v_fma_f16 v32, v10, s12, v32
	v_add_f16_e32 v42, v49, v42
	v_fma_f16 v10, v10, s4, v14
	v_pk_add_f16 v14, v6, v0
	v_add_f16_sdwa v30, v2, v4 dst_sel:DWORD dst_unused:UNUSED_PAD src0_sel:WORD_1 src1_sel:WORD_1
	v_lshrrev_b32_e32 v6, 16, v6
	v_fma_f16 v32, v42, s10, v32
	v_fma_f16 v10, v42, s10, v10
	v_fma_f16 v30, v30, -0.5, v6
	v_sub_f16_e32 v42, v0, v8
	v_sub_f16_sdwa v53, v0, v2 dst_sel:DWORD dst_unused:UNUSED_PAD src0_sel:WORD_1 src1_sel:WORD_1
	v_sub_f16_sdwa v54, v8, v4 dst_sel:DWORD dst_unused:UNUSED_PAD src0_sel:WORD_1 src1_sel:WORD_1
	v_fma_f16 v49, v42, s5, v30
	v_add_f16_e32 v53, v53, v54
	v_sub_f16_e32 v54, v2, v4
	v_fma_f16 v30, v42, s11, v30
	v_fma_f16 v49, v54, s4, v49
	;; [unrolled: 1-line block ×5, first 2 shown]
	v_add_f16_sdwa v53, v0, v8 dst_sel:DWORD dst_unused:UNUSED_PAD src0_sel:WORD_1 src1_sel:WORD_1
	v_pk_add_f16 v14, v14, v2
	v_fma_f16 v6, v53, -0.5, v6
	v_pk_add_f16 v14, v14, v4
	v_sub_f16_sdwa v0, v2, v0 dst_sel:DWORD dst_unused:UNUSED_PAD src0_sel:WORD_1 src1_sel:WORD_1
	v_sub_f16_sdwa v4, v4, v8 dst_sel:DWORD dst_unused:UNUSED_PAD src0_sel:WORD_1 src1_sel:WORD_1
	v_fma_f16 v2, v54, s11, v6
	v_add_f16_e32 v0, v0, v4
	v_fma_f16 v4, v54, s5, v6
	v_fma_f16 v2, v42, s4, v2
	;; [unrolled: 1-line block ×5, first 2 shown]
	v_mul_f16_e32 v4, 0xb8b4, v49
	v_fma_f16 v4, v12, s15, v4
	v_mul_f16_e32 v12, 0x38b4, v12
	v_pk_add_f16 v14, v14, v8
	v_mul_f16_e32 v8, 0xbb9c, v2
	v_mul_f16_e32 v54, 0xbb9c, v0
	v_fma_f16 v12, v49, s15, v12
	v_mul_f16_e32 v2, 0x34f2, v2
	v_mul_f16_e32 v0, 0xb4f2, v0
	v_add_f16_e32 v6, v39, v4
	v_fma_f16 v8, v32, s10, v8
	v_fma_f16 v54, v10, s13, v54
	v_mul_f16_e32 v56, 0xb8b4, v30
	v_add_f16_e32 v49, v51, v12
	v_fma_f16 v2, v32, s5, v2
	v_fma_f16 v0, v10, s5, v0
	v_mul_f16_e32 v30, 0xba79, v30
	v_mad_u32_u24 v23, v18, 36, v40
	v_add_f16_e32 v42, v47, v8
	v_add_f16_e32 v55, v36, v54
	v_fma_f16 v56, v9, s14, v56
	v_pk_add_f16 v58, v3, v14
	v_add_f16_e32 v32, v7, v2
	v_add_f16_e32 v10, v5, v0
	v_fma_f16 v9, v9, s4, v30
	v_pack_b32_f16 v6, v6, v49
	v_add_f16_e32 v57, v31, v56
	v_add_f16_e32 v30, v43, v9
	v_sub_f16_e32 v2, v7, v2
	s_barrier
	ds_write2_b32 v23, v58, v6 offset1:1
	v_pack_b32_f16 v6, v55, v10
	v_pack_b32_f16 v7, v42, v32
	v_sub_f16_e32 v4, v39, v4
	v_sub_f16_e32 v8, v47, v8
	;; [unrolled: 1-line block ×3, first 2 shown]
	ds_write2_b32 v23, v7, v6 offset0:2 offset1:3
	v_pk_add_f16 v3, v3, v14 neg_lo:[0,1] neg_hi:[0,1]
	v_pack_b32_f16 v6, v57, v30
	v_sub_f16_e32 v36, v36, v54
	v_sub_f16_e32 v31, v31, v56
	;; [unrolled: 1-line block ×4, first 2 shown]
	ds_write2_b32 v23, v6, v3 offset0:4 offset1:5
	v_pack_b32_f16 v2, v8, v2
	v_pack_b32_f16 v3, v4, v12
	ds_write2_b32 v23, v3, v2 offset0:6 offset1:7
	v_pack_b32_f16 v2, v31, v5
	v_pack_b32_f16 v0, v36, v0
	v_pk_add_f16 v53, v35, v1
	ds_write2_b32 v23, v0, v2 offset0:8 offset1:9
	v_pack_b32_f16 v0, v45, v44
	ds_write2_b32 v25, v53, v0 offset1:1
	v_pack_b32_f16 v0, v50, v41
	v_pack_b32_f16 v2, v48, v46
	ds_write2_b32 v25, v2, v0 offset0:2 offset1:3
	v_pk_add_f16 v0, v35, v1 neg_lo:[0,1] neg_hi:[0,1]
	v_pack_b32_f16 v1, v52, v38
	ds_write2_b32 v25, v1, v0 offset0:4 offset1:5
	v_pack_b32_f16 v0, v37, v15
	v_pack_b32_f16 v1, v34, v33
	ds_write2_b32 v25, v1, v0 offset0:6 offset1:7
	v_pack_b32_f16 v0, v27, v13
	v_pack_b32_f16 v1, v29, v11
	s_movk_i32 s16, 0xcd
	ds_write2_b32 v25, v1, v0 offset0:8 offset1:9
	v_mul_lo_u16_sdwa v0, v18, s16 dst_sel:DWORD dst_unused:UNUSED_PAD src0_sel:BYTE_0 src1_sel:DWORD
	v_lshrrev_b16_e32 v48, 11, v0
	v_mul_lo_u16_e32 v0, 10, v48
	v_sub_u16_e32 v49, v18, v0
	v_mov_b32_e32 v0, 9
	v_mul_u32_u24_sdwa v0, v49, v0 dst_sel:DWORD dst_unused:UNUSED_PAD src0_sel:BYTE_0 src1_sel:DWORD
	v_lshlrev_b32_e32 v46, 2, v0
	s_waitcnt lgkmcnt(0)
	s_barrier
	global_load_dwordx4 v[0:3], v46, s[8:9]
	s_mov_b32 s16, 0xcccd
	v_mul_u32_u24_sdwa v4, v22, s16 dst_sel:DWORD dst_unused:UNUSED_PAD src0_sel:WORD_0 src1_sel:DWORD
	v_lshrrev_b32_e32 v38, 19, v4
	v_mul_lo_u16_e32 v4, 10, v38
	v_sub_u16_e32 v39, v22, v4
	v_mul_u32_u24_e32 v4, 9, v39
	v_lshlrev_b32_e32 v47, 2, v4
	global_load_dwordx4 v[8:11], v47, s[8:9]
	global_load_dwordx4 v[4:7], v46, s[8:9] offset:16
	global_load_dwordx4 v[12:15], v47, s[8:9] offset:16
	v_lshl_add_u32 v41, v28, 2, 0
	ds_read_b32 v52, v41
	v_add_u32_e32 v23, 0x1580, v40
	v_add_u32_e32 v29, 0x1c00, v40
	v_lshl_add_u32 v42, v24, 2, 0
	v_add_u32_e32 v43, 0xf00, v40
	s_waitcnt lgkmcnt(0)
	v_lshrrev_b32_e32 v56, 16, v52
	v_add_u32_e32 v44, 0x2200, v40
	s_movk_i32 s16, 0xffdc
	ds_read2_b32 v[34:35], v23 offset0:24 offset1:224
	ds_read2_b32 v[32:33], v29 offset0:8 offset1:208
	;; [unrolled: 1-line block ×4, first 2 shown]
	v_mad_i32_i24 v45, v22, s16, v25
	ds_read_b32 v53, v42
	ds_read_b32 v54, v45
	ds_read_b32 v55, v40 offset:15200
	global_load_dword v59, v47, s[8:9] offset:32
	s_waitcnt lgkmcnt(6)
	v_lshrrev_b32_e32 v51, 16, v35
	s_waitcnt lgkmcnt(5)
	v_lshrrev_b32_e32 v50, 16, v33
	v_add_u32_e32 v27, 0x2800, v40
	v_mul_u32_u24_e32 v48, 0x190, v48
	s_movk_i32 s16, 0x64
	v_cmp_gt_u32_e32 vcc, s16, v18
	s_movk_i32 s16, 0x63
	s_waitcnt vmcnt(4)
	v_mul_f16_sdwa v57, v0, v56 dst_sel:DWORD dst_unused:UNUSED_PAD src0_sel:WORD_1 src1_sel:DWORD
	v_fma_f16 v57, v0, v52, v57
	v_mul_f16_sdwa v52, v0, v52 dst_sel:DWORD dst_unused:UNUSED_PAD src0_sel:WORD_1 src1_sel:DWORD
	v_fma_f16 v52, v0, v56, -v52
	global_load_dword v56, v46, s[8:9] offset:32
	s_waitcnt lgkmcnt(2)
	v_lshrrev_b32_e32 v0, 16, v53
	v_mul_f16_sdwa v46, v1, v0 dst_sel:DWORD dst_unused:UNUSED_PAD src0_sel:WORD_1 src1_sel:DWORD
	v_fma_f16 v58, v1, v53, v46
	v_mul_f16_sdwa v46, v1, v53 dst_sel:DWORD dst_unused:UNUSED_PAD src0_sel:WORD_1 src1_sel:DWORD
	v_fma_f16 v53, v1, v0, -v46
	v_lshrrev_b32_e32 v0, 16, v37
	v_mul_f16_sdwa v1, v2, v0 dst_sel:DWORD dst_unused:UNUSED_PAD src0_sel:WORD_1 src1_sel:DWORD
	v_fma_f16 v60, v2, v37, v1
	v_mul_f16_sdwa v1, v2, v37 dst_sel:DWORD dst_unused:UNUSED_PAD src0_sel:WORD_1 src1_sel:DWORD
	v_fma_f16 v37, v2, v0, -v1
	ds_read_b32 v2, v40 offset:2400
	v_mul_f16_sdwa v0, v51, v3 dst_sel:DWORD dst_unused:UNUSED_PAD src0_sel:DWORD src1_sel:WORD_1
	v_fma_f16 v61, v35, v3, v0
	v_mul_f16_sdwa v0, v35, v3 dst_sel:DWORD dst_unused:UNUSED_PAD src0_sel:DWORD src1_sel:WORD_1
	v_fma_f16 v35, v51, v3, -v0
	s_waitcnt lgkmcnt(0)
	v_lshrrev_b32_e32 v3, 16, v2
	s_waitcnt vmcnt(4)
	v_mul_f16_sdwa v47, v3, v8 dst_sel:DWORD dst_unused:UNUSED_PAD src0_sel:DWORD src1_sel:WORD_1
	v_lshrrev_b32_e32 v46, 16, v36
	v_fma_f16 v62, v2, v8, v47
	v_mul_f16_sdwa v2, v2, v8 dst_sel:DWORD dst_unused:UNUSED_PAD src0_sel:DWORD src1_sel:WORD_1
	v_fma_f16 v8, v3, v8, -v2
	v_mul_f16_sdwa v2, v46, v9 dst_sel:DWORD dst_unused:UNUSED_PAD src0_sel:DWORD src1_sel:WORD_1
	v_fma_f16 v63, v36, v9, v2
	v_mul_f16_sdwa v2, v36, v9 dst_sel:DWORD dst_unused:UNUSED_PAD src0_sel:DWORD src1_sel:WORD_1
	v_lshrrev_b32_e32 v3, 16, v34
	v_fma_f16 v9, v46, v9, -v2
	v_mul_f16_sdwa v2, v3, v10 dst_sel:DWORD dst_unused:UNUSED_PAD src0_sel:DWORD src1_sel:WORD_1
	v_fma_f16 v36, v34, v10, v2
	v_mul_f16_sdwa v2, v34, v10 dst_sel:DWORD dst_unused:UNUSED_PAD src0_sel:DWORD src1_sel:WORD_1
	v_lshrrev_b32_e32 v34, 16, v32
	v_fma_f16 v10, v3, v10, -v2
	v_mul_f16_sdwa v2, v32, v11 dst_sel:DWORD dst_unused:UNUSED_PAD src0_sel:DWORD src1_sel:WORD_1
	v_fma_f16 v64, v34, v11, -v2
	v_mul_f16_sdwa v2, v34, v11 dst_sel:DWORD dst_unused:UNUSED_PAD src0_sel:DWORD src1_sel:WORD_1
	s_waitcnt vmcnt(3)
	v_mul_f16_sdwa v3, v50, v4 dst_sel:DWORD dst_unused:UNUSED_PAD src0_sel:DWORD src1_sel:WORD_1
	v_fma_f16 v11, v32, v11, v2
	v_lshrrev_b32_e32 v2, 16, v31
	v_fma_f16 v34, v33, v4, v3
	v_mul_f16_sdwa v3, v33, v4 dst_sel:DWORD dst_unused:UNUSED_PAD src0_sel:DWORD src1_sel:WORD_1
	v_fma_f16 v4, v50, v4, -v3
	v_mul_f16_sdwa v3, v2, v5 dst_sel:DWORD dst_unused:UNUSED_PAD src0_sel:DWORD src1_sel:WORD_1
	ds_read2_b32 v[0:1], v27 offset0:40 offset1:240
	ds_read_b32 v51, v40
	v_add_u32_e32 v46, 0x2e80, v40
	v_fma_f16 v33, v31, v5, v3
	v_mul_f16_sdwa v3, v31, v5 dst_sel:DWORD dst_unused:UNUSED_PAD src0_sel:DWORD src1_sel:WORD_1
	v_fma_f16 v5, v2, v5, -v3
	ds_read2_b32 v[2:3], v46 offset0:24 offset1:224
	s_waitcnt lgkmcnt(2)
	v_lshrrev_b32_e32 v32, 16, v1
	v_mul_f16_sdwa v31, v1, v6 dst_sel:DWORD dst_unused:UNUSED_PAD src0_sel:DWORD src1_sel:WORD_1
	v_fma_f16 v31, v32, v6, -v31
	v_mul_f16_sdwa v32, v32, v6 dst_sel:DWORD dst_unused:UNUSED_PAD src0_sel:DWORD src1_sel:WORD_1
	v_fma_f16 v6, v1, v6, v32
	s_waitcnt lgkmcnt(0)
	v_lshrrev_b32_e32 v1, 16, v3
	v_mul_f16_sdwa v32, v3, v7 dst_sel:DWORD dst_unused:UNUSED_PAD src0_sel:DWORD src1_sel:WORD_1
	v_fma_f16 v32, v1, v7, -v32
	v_mul_f16_sdwa v1, v1, v7 dst_sel:DWORD dst_unused:UNUSED_PAD src0_sel:DWORD src1_sel:WORD_1
	v_fma_f16 v3, v3, v7, v1
	v_lshrrev_b32_e32 v1, 16, v30
	s_waitcnt vmcnt(2)
	v_mul_f16_sdwa v7, v1, v12 dst_sel:DWORD dst_unused:UNUSED_PAD src0_sel:DWORD src1_sel:WORD_1
	v_fma_f16 v7, v30, v12, v7
	v_mul_f16_sdwa v30, v30, v12 dst_sel:DWORD dst_unused:UNUSED_PAD src0_sel:DWORD src1_sel:WORD_1
	v_fma_f16 v12, v1, v12, -v30
	v_lshrrev_b32_e32 v1, 16, v0
	v_mul_f16_sdwa v30, v1, v13 dst_sel:DWORD dst_unused:UNUSED_PAD src0_sel:DWORD src1_sel:WORD_1
	v_fma_f16 v30, v0, v13, v30
	v_mul_f16_sdwa v0, v0, v13 dst_sel:DWORD dst_unused:UNUSED_PAD src0_sel:DWORD src1_sel:WORD_1
	v_add_u32_e32 v47, 0x3500, v40
	v_fma_f16 v13, v1, v13, -v0
	ds_read2_b32 v[0:1], v47 offset0:8 offset1:208
	v_lshrrev_b32_e32 v50, 16, v2
	v_mul_f16_sdwa v65, v50, v14 dst_sel:DWORD dst_unused:UNUSED_PAD src0_sel:DWORD src1_sel:WORD_1
	v_fma_f16 v65, v2, v14, v65
	v_mul_f16_sdwa v2, v2, v14 dst_sel:DWORD dst_unused:UNUSED_PAD src0_sel:DWORD src1_sel:WORD_1
	v_fma_f16 v2, v50, v14, -v2
	s_waitcnt lgkmcnt(0)
	v_lshrrev_b32_e32 v14, 16, v0
	v_mul_f16_sdwa v50, v0, v15 dst_sel:DWORD dst_unused:UNUSED_PAD src0_sel:DWORD src1_sel:WORD_1
	v_fma_f16 v50, v14, v15, -v50
	v_mul_f16_sdwa v14, v14, v15 dst_sel:DWORD dst_unused:UNUSED_PAD src0_sel:DWORD src1_sel:WORD_1
	v_fma_f16 v0, v0, v15, v14
	v_lshrrev_b32_e32 v14, 16, v1
	s_waitcnt vmcnt(0)
	v_mul_f16_sdwa v15, v14, v56 dst_sel:DWORD dst_unused:UNUSED_PAD src0_sel:DWORD src1_sel:WORD_1
	v_fma_f16 v15, v1, v56, v15
	v_mul_f16_sdwa v1, v1, v56 dst_sel:DWORD dst_unused:UNUSED_PAD src0_sel:DWORD src1_sel:WORD_1
	v_fma_f16 v1, v14, v56, -v1
	v_lshrrev_b32_e32 v14, 16, v55
	v_mul_f16_sdwa v56, v14, v59 dst_sel:DWORD dst_unused:UNUSED_PAD src0_sel:DWORD src1_sel:WORD_1
	v_fma_f16 v56, v55, v59, v56
	v_mul_f16_sdwa v55, v55, v59 dst_sel:DWORD dst_unused:UNUSED_PAD src0_sel:DWORD src1_sel:WORD_1
	v_fma_f16 v14, v14, v59, -v55
	v_sub_f16_e32 v55, v58, v61
	v_sub_f16_e32 v59, v3, v33
	v_add_f16_e32 v55, v55, v59
	v_sub_f16_e32 v59, v53, v35
	v_sub_f16_e32 v66, v32, v5
	v_add_f16_e32 v59, v59, v66
	;; [unrolled: 3-line block ×4, first 2 shown]
	v_add_f16_e32 v67, v67, v68
	v_add_f16_e32 v68, v34, v6
	v_fma_f16 v72, v72, -0.5, v52
	v_sub_f16_e32 v73, v60, v15
	v_fma_f16 v68, v68, -0.5, v57
	v_sub_f16_e32 v69, v37, v1
	v_fma_f16 v74, v73, s5, v72
	v_sub_f16_e32 v75, v34, v6
	v_fma_f16 v70, v69, s11, v68
	;; [unrolled: 2-line block ×3, first 2 shown]
	v_fma_f16 v70, v71, s12, v70
	v_fma_f16 v74, v67, s10, v74
	;; [unrolled: 1-line block ×3, first 2 shown]
	v_mul_f16_e32 v76, 0xb8b4, v74
	v_mul_f16_e32 v74, 0x3a79, v74
	v_fma_f16 v76, v70, s15, v76
	v_fma_f16 v70, v70, s4, v74
	v_mov_b32_e32 v74, 2
	v_lshlrev_b32_sdwa v49, v74, v49 dst_sel:DWORD dst_unused:UNUSED_PAD src0_sel:DWORD src1_sel:BYTE_0
	v_lshrrev_b32_e32 v74, 16, v51
	v_add3_u32 v48, 0, v48, v49
	v_add_f16_e32 v49, v51, v58
	v_add_f16_e32 v77, v74, v53
	v_add_f16_e32 v78, v57, v60
	v_add_f16_e32 v79, v52, v37
	v_add_f16_e32 v49, v49, v61
	v_add_f16_e32 v77, v77, v35
	v_add_f16_e32 v78, v78, v34
	v_add_f16_e32 v79, v79, v4
	v_add_f16_e32 v49, v49, v33
	v_add_f16_e32 v77, v77, v5
	v_add_f16_e32 v78, v78, v6
	v_add_f16_e32 v79, v79, v31
	v_add_f16_e32 v49, v49, v3
	v_add_f16_e32 v77, v77, v32
	v_add_f16_e32 v78, v78, v15
	v_add_f16_e32 v79, v79, v1
	v_add_f16_e32 v80, v49, v78
	v_add_f16_e32 v81, v77, v79
	v_pack_b32_f16 v80, v80, v81
	v_add_f16_e32 v81, v61, v33
	v_add_f16_e32 v85, v35, v5
	v_fma_f16 v81, v81, -0.5, v51
	v_sub_f16_e32 v82, v53, v32
	v_fma_f16 v85, v85, -0.5, v74
	v_sub_f16_e32 v86, v58, v3
	v_fma_f16 v83, v82, s11, v81
	v_sub_f16_e32 v84, v35, v5
	v_fma_f16 v87, v86, s5, v85
	;; [unrolled: 2-line block ×3, first 2 shown]
	v_fma_f16 v87, v88, s4, v87
	v_fma_f16 v83, v55, s10, v83
	;; [unrolled: 1-line block ×3, first 2 shown]
	v_add_f16_e32 v89, v83, v76
	v_add_f16_e32 v90, v87, v70
	v_pack_b32_f16 v89, v89, v90
	s_barrier
	ds_write2_b32 v48, v80, v89 offset1:10
	v_fma_f16 v80, v82, s5, v81
	v_fma_f16 v80, v84, s4, v80
	;; [unrolled: 1-line block ×3, first 2 shown]
	v_add_f16_e32 v80, v58, v3
	v_sub_f16_e32 v58, v61, v58
	v_sub_f16_e32 v3, v33, v3
	v_add_f16_e32 v3, v58, v3
	v_add_f16_e32 v58, v53, v32
	v_sub_f16_e32 v35, v35, v53
	v_add_f16_e32 v53, v60, v15
	v_fma_f16 v53, v53, -0.5, v57
	v_sub_f16_e32 v34, v34, v60
	v_sub_f16_e32 v6, v6, v15
	v_add_f16_e32 v6, v34, v6
	v_fma_f16 v15, v71, s5, v53
	v_fma_f16 v34, v71, s11, v53
	v_add_f16_e32 v53, v37, v1
	v_fma_f16 v52, v53, -0.5, v52
	v_sub_f16_e32 v4, v4, v37
	v_sub_f16_e32 v1, v31, v1
	v_fma_f16 v58, v58, -0.5, v74
	v_sub_f16_e32 v5, v5, v32
	v_add_f16_e32 v1, v4, v1
	v_fma_f16 v4, v75, s11, v52
	v_fma_f16 v51, v80, -0.5, v51
	v_add_f16_e32 v5, v35, v5
	v_fma_f16 v32, v88, s11, v58
	v_fma_f16 v35, v88, s5, v58
	v_fma_f16 v15, v69, s12, v15
	v_fma_f16 v34, v69, s4, v34
	v_fma_f16 v31, v75, s5, v52
	v_fma_f16 v4, v73, s4, v4
	v_fma_f16 v33, v84, s5, v51
	v_fma_f16 v51, v84, s11, v51
	v_fma_f16 v32, v86, s4, v32
	v_fma_f16 v35, v86, s12, v35
	v_fma_f16 v15, v6, s10, v15
	v_fma_f16 v6, v6, s10, v34
	v_fma_f16 v34, v73, s11, v72
	v_fma_f16 v31, v73, s12, v31
	v_fma_f16 v4, v1, s10, v4
	v_fma_f16 v33, v82, s12, v33
	v_fma_f16 v51, v82, s4, v51
	v_fma_f16 v32, v5, s10, v32
	v_fma_f16 v5, v5, s10, v35
	v_fma_f16 v35, v69, s5, v68
	v_fma_f16 v34, v75, s12, v34
	v_fma_f16 v1, v1, s10, v31
	v_mul_f16_e32 v31, 0xbb9c, v4
	v_mul_f16_e32 v4, 0x34f2, v4
	v_fma_f16 v33, v3, s10, v33
	v_fma_f16 v3, v3, s10, v51
	v_fma_f16 v51, v86, s11, v85
	v_fma_f16 v35, v71, s4, v35
	v_fma_f16 v34, v67, s10, v34
	v_fma_f16 v31, v15, s10, v31
	v_fma_f16 v4, v15, s5, v4
	v_mul_f16_e32 v15, 0xbb9c, v1
	v_mul_f16_e32 v1, 0xb4f2, v1
	v_fma_f16 v51, v88, s12, v51
	v_fma_f16 v35, v66, s10, v35
	v_fma_f16 v15, v6, s13, v15
	v_fma_f16 v1, v6, s5, v1
	v_mul_f16_e32 v6, 0xb8b4, v34
	v_mul_f16_e32 v34, 0xba79, v34
	v_fma_f16 v51, v59, s10, v51
	v_fma_f16 v6, v35, s14, v6
	;; [unrolled: 1-line block ×3, first 2 shown]
	v_sub_f16_e32 v35, v49, v78
	v_add_f16_e32 v49, v33, v31
	v_sub_f16_e32 v31, v33, v31
	v_add_f16_e32 v33, v3, v15
	;; [unrolled: 2-line block ×6, first 2 shown]
	v_sub_f16_e32 v34, v51, v34
	v_sub_f16_e32 v51, v63, v11
	v_sub_f16_e32 v57, v0, v30
	v_add_f16_e32 v51, v51, v57
	v_add_f16_e32 v57, v11, v30
	v_fma_f16 v57, v57, -0.5, v54
	v_sub_f16_e32 v58, v9, v50
	v_fma_f16 v59, v58, s11, v57
	v_sub_f16_e32 v60, v64, v13
	v_fma_f16 v57, v58, s5, v57
	v_fma_f16 v59, v60, s12, v59
	;; [unrolled: 1-line block ×5, first 2 shown]
	v_sub_f16_e32 v57, v11, v63
	v_sub_f16_e32 v61, v30, v0
	v_add_f16_e32 v57, v57, v61
	v_add_f16_e32 v61, v63, v0
	v_fma_f16 v61, v61, -0.5, v54
	v_fma_f16 v66, v60, s5, v61
	v_fma_f16 v60, v60, s11, v61
	;; [unrolled: 1-line block ×6, first 2 shown]
	v_add_f16_e32 v58, v54, v63
	v_add_f16_e32 v58, v58, v11
	;; [unrolled: 1-line block ×3, first 2 shown]
	v_sub_f16_e32 v11, v11, v30
	v_sub_f16_e32 v30, v9, v64
	;; [unrolled: 1-line block ×3, first 2 shown]
	v_add_f16_e32 v30, v30, v61
	v_lshrrev_b32_e32 v54, 16, v54
	v_add_f16_e32 v61, v64, v13
	v_add_f16_e32 v58, v58, v0
	v_sub_f16_e32 v0, v63, v0
	v_fma_f16 v61, v61, -0.5, v54
	v_fma_f16 v63, v0, s5, v61
	v_fma_f16 v61, v0, s11, v61
	;; [unrolled: 1-line block ×6, first 2 shown]
	v_add_f16_e32 v61, v9, v50
	v_fma_f16 v61, v61, -0.5, v54
	v_add_f16_e32 v54, v54, v9
	v_add_f16_e32 v54, v54, v64
	v_sub_f16_e32 v9, v64, v9
	v_add_f16_e32 v54, v54, v13
	v_sub_f16_e32 v13, v13, v50
	v_add_f16_e32 v9, v9, v13
	v_fma_f16 v13, v11, s11, v61
	v_fma_f16 v11, v11, s5, v61
	;; [unrolled: 1-line block ×6, first 2 shown]
	v_sub_f16_e32 v9, v36, v7
	v_sub_f16_e32 v13, v56, v65
	v_add_f16_e32 v9, v9, v13
	v_add_f16_e32 v13, v7, v65
	;; [unrolled: 1-line block ×3, first 2 shown]
	v_fma_f16 v13, v13, -0.5, v62
	v_sub_f16_e32 v50, v10, v14
	v_fma_f16 v61, v50, s11, v13
	v_sub_f16_e32 v64, v12, v2
	v_fma_f16 v13, v50, s5, v13
	v_fma_f16 v61, v64, s12, v61
	;; [unrolled: 1-line block ×5, first 2 shown]
	v_sub_f16_e32 v13, v7, v36
	v_sub_f16_e32 v66, v65, v56
	v_add_f16_e32 v13, v13, v66
	v_add_f16_e32 v66, v36, v56
	v_fma_f16 v66, v66, -0.5, v62
	v_fma_f16 v67, v64, s5, v66
	v_fma_f16 v64, v64, s11, v66
	;; [unrolled: 1-line block ×6, first 2 shown]
	v_add_f16_e32 v50, v62, v36
	v_add_f16_e32 v50, v50, v7
	;; [unrolled: 1-line block ×4, first 2 shown]
	v_sub_f16_e32 v36, v36, v56
	v_sub_f16_e32 v56, v10, v12
	;; [unrolled: 1-line block ×3, first 2 shown]
	v_add_f16_e32 v56, v56, v62
	v_add_f16_e32 v62, v12, v2
	v_fma_f16 v62, v62, -0.5, v8
	v_sub_f16_e32 v7, v7, v65
	v_fma_f16 v65, v36, s5, v62
	v_fma_f16 v62, v36, s11, v62
	;; [unrolled: 1-line block ×6, first 2 shown]
	v_add_f16_e32 v62, v10, v14
	v_fma_f16 v62, v62, -0.5, v8
	v_add_f16_e32 v8, v8, v10
	v_add_f16_e32 v8, v8, v12
	v_sub_f16_e32 v10, v12, v10
	v_add_f16_e32 v8, v8, v2
	v_sub_f16_e32 v2, v2, v14
	v_add_f16_e32 v2, v10, v2
	v_fma_f16 v10, v7, s11, v62
	v_fma_f16 v7, v7, s5, v62
	v_fma_f16 v10, v36, s4, v10
	v_fma_f16 v7, v36, s12, v7
	v_fma_f16 v10, v2, s10, v10
	v_fma_f16 v2, v2, s10, v7
	v_mul_f16_e32 v36, 0xbb9c, v2
	v_mul_f16_e32 v2, 0xb4f2, v2
	v_sub_f16_e32 v52, v77, v79
	v_add_f16_e32 v8, v8, v14
	v_mul_f16_e32 v7, 0xb8b4, v65
	v_mul_f16_e32 v12, 0x3a79, v65
	;; [unrolled: 1-line block ×3, first 2 shown]
	v_fma_f16 v36, v13, s13, v36
	v_fma_f16 v2, v13, s5, v2
	v_mul_f16_e32 v13, 0xb8b4, v56
	v_sub_f16_e32 v37, v83, v76
	v_sub_f16_e32 v53, v87, v70
	v_fma_f16 v7, v61, s15, v7
	v_fma_f16 v12, v61, s4, v12
	;; [unrolled: 1-line block ×3, first 2 shown]
	v_mul_f16_e32 v10, 0x34f2, v10
	v_fma_f16 v13, v9, s14, v13
	v_mul_f16_e32 v56, 0xba79, v56
	v_pack_b32_f16 v5, v15, v5
	v_pack_b32_f16 v15, v35, v52
	;; [unrolled: 1-line block ×4, first 2 shown]
	v_fma_f16 v10, v64, s5, v10
	v_fma_f16 v9, v9, s4, v56
	v_add_f16_e32 v56, v58, v50
	v_sub_f16_e32 v50, v58, v50
	v_add_f16_e32 v58, v59, v7
	v_sub_f16_e32 v7, v59, v7
	v_add_f16_e32 v59, v60, v14
	v_sub_f16_e32 v14, v60, v14
	v_add_f16_e32 v60, v57, v36
	v_sub_f16_e32 v36, v57, v36
	v_add_f16_e32 v57, v51, v13
	v_sub_f16_e32 v13, v51, v13
	v_add_f16_e32 v51, v54, v8
	v_sub_f16_e32 v8, v54, v8
	v_add_f16_e32 v54, v63, v12
	ds_write2_b32 v48, v5, v15 offset0:40 offset1:50
	v_pack_b32_f16 v5, v37, v53
	v_pack_b32_f16 v4, v31, v4
	ds_write2_b32 v48, v1, v3 offset0:80 offset1:90
	v_mul_u32_u24_e32 v1, 0x190, v38
	v_lshlrev_b32_e32 v3, 2, v39
	v_add_f16_e32 v61, v11, v10
	v_sub_f16_e32 v10, v11, v10
	v_add_f16_e32 v11, v0, v2
	v_sub_f16_e32 v0, v0, v2
	;; [unrolled: 2-line block ×3, first 2 shown]
	v_pack_b32_f16 v30, v49, v55
	v_pack_b32_f16 v32, v33, v32
	ds_write2_b32 v48, v5, v4 offset0:60 offset1:70
	v_add3_u32 v1, 0, v1, v3
	v_pack_b32_f16 v3, v56, v51
	v_pack_b32_f16 v4, v58, v54
	ds_write2_b32 v48, v30, v32 offset0:20 offset1:30
	ds_write2_b32 v1, v3, v4 offset1:10
	v_pack_b32_f16 v3, v59, v61
	v_pack_b32_f16 v4, v60, v11
	v_sub_f16_e32 v12, v63, v12
	ds_write2_b32 v1, v3, v4 offset0:20 offset1:30
	v_pack_b32_f16 v2, v57, v2
	v_pack_b32_f16 v3, v50, v8
	ds_write2_b32 v1, v2, v3 offset0:40 offset1:50
	v_pack_b32_f16 v2, v7, v12
	v_pack_b32_f16 v3, v14, v10
	;; [unrolled: 3-line block ×3, first 2 shown]
	ds_write2_b32 v1, v0, v2 offset0:80 offset1:90
	v_add_u32_e32 v0, 0xffffff9c, v18
	v_cndmask_b32_e32 v49, v0, v18, vcc
	v_mul_i32_i24_e32 v30, 9, v49
	v_mov_b32_e32 v31, 0
	v_lshl_add_u64 v[32:33], v[30:31], 2, s[8:9]
	s_waitcnt lgkmcnt(0)
	s_barrier
	global_load_dwordx4 v[0:3], v[32:33], off offset:360
	v_lshrrev_b16_e32 v4, 2, v22
	v_mul_u32_u24_e32 v4, 0x147b, v4
	v_lshrrev_b32_e32 v30, 17, v4
	v_mul_lo_u16_e32 v4, 0x64, v30
	v_sub_u16_e32 v48, v22, v4
	v_mul_u32_u24_e32 v4, 9, v48
	v_lshlrev_b32_e32 v50, 2, v4
	global_load_dwordx4 v[8:11], v50, s[8:9] offset:360
	global_load_dwordx4 v[4:7], v[32:33], off offset:376
	global_load_dwordx4 v[12:15], v50, s[8:9] offset:376
	ds_read2_b32 v[38:39], v43 offset0:40 offset1:240
	ds_read2_b32 v[36:37], v23 offset0:24 offset1:224
	ds_read_b32 v51, v41
	ds_read2_b32 v[34:35], v29 offset0:8 offset1:208
	ds_read_b32 v52, v42
	ds_read_b32 v53, v45
	ds_read_b32 v54, v40 offset:15200
	s_waitcnt lgkmcnt(4)
	v_lshrrev_b32_e32 v55, 16, v51
	global_load_dword v32, v[32:33], off offset:392
	ds_read_b32 v58, v40
	v_cmp_lt_u32_e32 vcc, s16, v18
	v_lshlrev_b32_e32 v49, 2, v49
	s_waitcnt vmcnt(4)
	v_mul_f16_sdwa v56, v0, v55 dst_sel:DWORD dst_unused:UNUSED_PAD src0_sel:WORD_1 src1_sel:DWORD
	v_fma_f16 v56, v0, v51, v56
	v_mul_f16_sdwa v51, v0, v51 dst_sel:DWORD dst_unused:UNUSED_PAD src0_sel:WORD_1 src1_sel:DWORD
	v_fma_f16 v51, v0, v55, -v51
	s_waitcnt lgkmcnt(3)
	v_lshrrev_b32_e32 v0, 16, v52
	v_mul_f16_sdwa v33, v1, v0 dst_sel:DWORD dst_unused:UNUSED_PAD src0_sel:WORD_1 src1_sel:DWORD
	v_fma_f16 v33, v1, v52, v33
	v_mul_f16_sdwa v52, v1, v52 dst_sel:DWORD dst_unused:UNUSED_PAD src0_sel:WORD_1 src1_sel:DWORD
	v_fma_f16 v52, v1, v0, -v52
	v_lshrrev_b32_e32 v0, 16, v39
	v_mul_f16_sdwa v1, v2, v0 dst_sel:DWORD dst_unused:UNUSED_PAD src0_sel:WORD_1 src1_sel:DWORD
	v_fma_f16 v55, v2, v39, v1
	v_mul_f16_sdwa v1, v2, v39 dst_sel:DWORD dst_unused:UNUSED_PAD src0_sel:WORD_1 src1_sel:DWORD
	v_fma_f16 v39, v2, v0, -v1
	ds_read_b32 v2, v40 offset:2400
	v_lshrrev_b32_e32 v0, 16, v37
	v_mul_f16_sdwa v1, v3, v37 dst_sel:DWORD dst_unused:UNUSED_PAD src0_sel:WORD_1 src1_sel:DWORD
	v_fma_f16 v57, v3, v0, -v1
	v_mul_f16_sdwa v0, v3, v0 dst_sel:DWORD dst_unused:UNUSED_PAD src0_sel:WORD_1 src1_sel:DWORD
	v_fma_f16 v37, v3, v37, v0
	s_waitcnt lgkmcnt(0)
	v_lshrrev_b32_e32 v0, 16, v2
	s_waitcnt vmcnt(3)
	v_mul_f16_sdwa v59, v0, v8 dst_sel:DWORD dst_unused:UNUSED_PAD src0_sel:DWORD src1_sel:WORD_1
	v_lshrrev_b32_e32 v1, 16, v38
	v_fma_f16 v59, v2, v8, v59
	v_mul_f16_sdwa v2, v2, v8 dst_sel:DWORD dst_unused:UNUSED_PAD src0_sel:DWORD src1_sel:WORD_1
	v_fma_f16 v8, v0, v8, -v2
	v_mul_f16_sdwa v0, v1, v9 dst_sel:DWORD dst_unused:UNUSED_PAD src0_sel:DWORD src1_sel:WORD_1
	v_lshrrev_b32_e32 v3, 16, v36
	v_fma_f16 v60, v38, v9, v0
	v_mul_f16_sdwa v0, v38, v9 dst_sel:DWORD dst_unused:UNUSED_PAD src0_sel:DWORD src1_sel:WORD_1
	v_fma_f16 v9, v1, v9, -v0
	v_mul_f16_sdwa v0, v3, v10 dst_sel:DWORD dst_unused:UNUSED_PAD src0_sel:DWORD src1_sel:WORD_1
	v_fma_f16 v38, v36, v10, v0
	v_mul_f16_sdwa v0, v36, v10 dst_sel:DWORD dst_unused:UNUSED_PAD src0_sel:DWORD src1_sel:WORD_1
	v_lshrrev_b32_e32 v2, 16, v34
	v_fma_f16 v10, v3, v10, -v0
	ds_read2_b32 v[0:1], v44 offset0:24 offset1:224
	v_mul_f16_sdwa v3, v2, v11 dst_sel:DWORD dst_unused:UNUSED_PAD src0_sel:DWORD src1_sel:WORD_1
	v_fma_f16 v36, v34, v11, v3
	v_mul_f16_sdwa v3, v34, v11 dst_sel:DWORD dst_unused:UNUSED_PAD src0_sel:DWORD src1_sel:WORD_1
	v_fma_f16 v11, v2, v11, -v3
	v_lshrrev_b32_e32 v2, 16, v35
	s_waitcnt vmcnt(2)
	v_mul_f16_sdwa v3, v2, v4 dst_sel:DWORD dst_unused:UNUSED_PAD src0_sel:DWORD src1_sel:WORD_1
	s_waitcnt lgkmcnt(0)
	v_lshrrev_b32_e32 v34, 16, v1
	v_fma_f16 v61, v35, v4, v3
	v_mul_f16_sdwa v3, v35, v4 dst_sel:DWORD dst_unused:UNUSED_PAD src0_sel:DWORD src1_sel:WORD_1
	v_fma_f16 v35, v2, v4, -v3
	ds_read2_b32 v[2:3], v27 offset0:40 offset1:240
	v_mul_f16_sdwa v4, v34, v5 dst_sel:DWORD dst_unused:UNUSED_PAD src0_sel:DWORD src1_sel:WORD_1
	v_fma_f16 v62, v1, v5, v4
	v_mul_f16_sdwa v1, v1, v5 dst_sel:DWORD dst_unused:UNUSED_PAD src0_sel:DWORD src1_sel:WORD_1
	v_fma_f16 v34, v34, v5, -v1
	ds_read2_b32 v[4:5], v46 offset0:24 offset1:224
	s_waitcnt lgkmcnt(1)
	v_lshrrev_b32_e32 v1, 16, v3
	v_mul_f16_sdwa v63, v3, v6 dst_sel:DWORD dst_unused:UNUSED_PAD src0_sel:DWORD src1_sel:WORD_1
	v_fma_f16 v63, v1, v6, -v63
	v_mul_f16_sdwa v1, v1, v6 dst_sel:DWORD dst_unused:UNUSED_PAD src0_sel:DWORD src1_sel:WORD_1
	v_fma_f16 v3, v3, v6, v1
	s_waitcnt lgkmcnt(0)
	v_lshrrev_b32_e32 v1, 16, v5
	v_mul_f16_sdwa v6, v5, v7 dst_sel:DWORD dst_unused:UNUSED_PAD src0_sel:DWORD src1_sel:WORD_1
	v_fma_f16 v6, v1, v7, -v6
	v_mul_f16_sdwa v1, v1, v7 dst_sel:DWORD dst_unused:UNUSED_PAD src0_sel:DWORD src1_sel:WORD_1
	v_fma_f16 v5, v5, v7, v1
	global_load_dword v7, v50, s[8:9] offset:392
	v_lshrrev_b32_e32 v1, 16, v0
	s_waitcnt vmcnt(2)
	v_mul_f16_sdwa v50, v1, v12 dst_sel:DWORD dst_unused:UNUSED_PAD src0_sel:DWORD src1_sel:WORD_1
	v_fma_f16 v50, v0, v12, v50
	v_mul_f16_sdwa v0, v0, v12 dst_sel:DWORD dst_unused:UNUSED_PAD src0_sel:DWORD src1_sel:WORD_1
	v_fma_f16 v12, v1, v12, -v0
	v_lshrrev_b32_e32 v0, 16, v2
	v_mul_f16_sdwa v1, v0, v13 dst_sel:DWORD dst_unused:UNUSED_PAD src0_sel:DWORD src1_sel:WORD_1
	v_fma_f16 v64, v2, v13, v1
	v_mul_f16_sdwa v1, v2, v13 dst_sel:DWORD dst_unused:UNUSED_PAD src0_sel:DWORD src1_sel:WORD_1
	v_fma_f16 v2, v0, v13, -v1
	ds_read2_b32 v[0:1], v47 offset0:8 offset1:208
	v_lshrrev_b32_e32 v13, 16, v4
	v_mul_f16_sdwa v65, v13, v14 dst_sel:DWORD dst_unused:UNUSED_PAD src0_sel:DWORD src1_sel:WORD_1
	v_fma_f16 v65, v4, v14, v65
	v_mul_f16_sdwa v4, v4, v14 dst_sel:DWORD dst_unused:UNUSED_PAD src0_sel:DWORD src1_sel:WORD_1
	v_fma_f16 v4, v13, v14, -v4
	s_waitcnt lgkmcnt(0)
	v_lshrrev_b32_e32 v13, 16, v0
	v_mul_f16_sdwa v14, v0, v15 dst_sel:DWORD dst_unused:UNUSED_PAD src0_sel:DWORD src1_sel:WORD_1
	v_fma_f16 v14, v13, v15, -v14
	v_mul_f16_sdwa v13, v13, v15 dst_sel:DWORD dst_unused:UNUSED_PAD src0_sel:DWORD src1_sel:WORD_1
	v_fma_f16 v0, v0, v15, v13
	v_lshrrev_b32_e32 v13, 16, v1
	s_waitcnt vmcnt(1)
	v_mul_f16_sdwa v15, v13, v32 dst_sel:DWORD dst_unused:UNUSED_PAD src0_sel:DWORD src1_sel:WORD_1
	v_fma_f16 v15, v1, v32, v15
	v_mul_f16_sdwa v1, v1, v32 dst_sel:DWORD dst_unused:UNUSED_PAD src0_sel:DWORD src1_sel:WORD_1
	v_fma_f16 v1, v13, v32, -v1
	v_sub_f16_e32 v13, v37, v33
	v_sub_f16_e32 v32, v62, v5
	v_add_f16_e32 v13, v13, v32
	v_add_f16_e32 v32, v33, v5
	v_fma_f16 v32, v32, -0.5, v58
	v_sub_f16_e32 v67, v57, v34
	v_sub_f16_e32 v66, v52, v6
	v_fma_f16 v68, v67, s5, v32
	v_fma_f16 v32, v67, s11, v32
	;; [unrolled: 1-line block ×6, first 2 shown]
	v_sub_f16_e32 v32, v57, v52
	v_sub_f16_e32 v69, v34, v6
	v_add_f16_e32 v32, v32, v69
	v_lshrrev_b32_e32 v69, 16, v58
	v_add_f16_e32 v70, v52, v6
	v_fma_f16 v70, v70, -0.5, v69
	v_sub_f16_e32 v72, v37, v62
	v_sub_f16_e32 v71, v33, v5
	v_fma_f16 v73, v72, s11, v70
	v_fma_f16 v70, v72, s5, v70
	;; [unrolled: 1-line block ×6, first 2 shown]
	v_sub_f16_e32 v70, v61, v55
	v_sub_f16_e32 v74, v3, v15
	v_add_f16_e32 v70, v70, v74
	v_add_f16_e32 v74, v55, v15
	v_fma_f16 v74, v74, -0.5, v56
	v_sub_f16_e32 v76, v35, v63
	v_sub_f16_e32 v75, v39, v1
	v_fma_f16 v77, v76, s5, v74
	v_fma_f16 v74, v76, s11, v74
	;; [unrolled: 1-line block ×6, first 2 shown]
	v_sub_f16_e32 v74, v35, v39
	v_sub_f16_e32 v78, v63, v1
	v_add_f16_e32 v74, v74, v78
	v_add_f16_e32 v78, v39, v1
	v_fma_f16 v78, v78, -0.5, v51
	v_sub_f16_e32 v80, v61, v3
	v_sub_f16_e32 v79, v55, v15
	v_fma_f16 v81, v80, s11, v78
	v_fma_f16 v81, v79, s4, v81
	;; [unrolled: 1-line block ×6, first 2 shown]
	v_mul_f16_e32 v78, 0xbb9c, v81
	v_mul_f16_e32 v81, 0x34f2, v81
	v_fma_f16 v78, v77, s10, v78
	v_fma_f16 v77, v77, s5, v81
	v_mul_f16_e32 v81, 0xbb9c, v74
	v_mul_f16_e32 v74, 0xb4f2, v74
	v_fma_f16 v81, v70, s13, v81
	v_fma_f16 v70, v70, s5, v74
	v_mov_b32_e32 v74, 0xfa0
	v_cndmask_b32_e32 v74, 0, v74, vcc
	v_add3_u32 v49, 0, v74, v49
	v_add_f16_e32 v74, v68, v78
	v_add_f16_e32 v82, v73, v77
	v_pack_b32_f16 v74, v74, v82
	v_add_f16_e32 v82, v13, v81
	v_add_f16_e32 v83, v32, v70
	v_pack_b32_f16 v82, v82, v83
	v_add_u32_e32 v83, 0x200, v49
	s_barrier
	ds_write2_b32 v83, v74, v82 offset0:72 offset1:172
	v_lshrrev_b32_e32 v74, 16, v54
	s_waitcnt vmcnt(0)
	v_mul_f16_sdwa v82, v74, v7 dst_sel:DWORD dst_unused:UNUSED_PAD src0_sel:DWORD src1_sel:WORD_1
	v_fma_f16 v82, v54, v7, v82
	v_mul_f16_sdwa v54, v54, v7 dst_sel:DWORD dst_unused:UNUSED_PAD src0_sel:DWORD src1_sel:WORD_1
	v_fma_f16 v7, v74, v7, -v54
	v_add_f16_e32 v54, v37, v62
	v_fma_f16 v54, v54, -0.5, v58
	v_add_f16_e32 v58, v58, v33
	v_add_f16_e32 v58, v58, v37
	v_sub_f16_e32 v33, v33, v37
	v_add_f16_e32 v37, v58, v62
	v_add_f16_e32 v58, v69, v52
	v_add_f16_e32 v37, v37, v5
	v_sub_f16_e32 v5, v5, v62
	v_add_f16_e32 v58, v58, v57
	;; [unrolled: 4-line block ×3, first 2 shown]
	v_add_f16_e32 v57, v57, v6
	v_sub_f16_e32 v6, v6, v34
	v_add_f16_e32 v6, v52, v6
	v_add_f16_e32 v52, v56, v55
	;; [unrolled: 1-line block ×6, first 2 shown]
	v_sub_f16_e32 v3, v15, v3
	v_add_f16_e32 v15, v35, v63
	v_fma_f16 v15, v15, -0.5, v51
	v_add_f16_e32 v51, v51, v39
	v_add_f16_e32 v51, v51, v35
	v_sub_f16_e32 v35, v39, v35
	v_add_f16_e32 v39, v51, v63
	v_fma_f16 v34, v34, -0.5, v56
	v_add_f16_e32 v39, v39, v1
	v_sub_f16_e32 v1, v1, v63
	v_fma_f16 v51, v79, s5, v15
	v_sub_f16_e32 v55, v55, v61
	v_add_f16_e32 v1, v35, v1
	v_fma_f16 v35, v75, s11, v34
	v_fma_f16 v51, v80, s4, v51
	v_add_f16_e32 v3, v55, v3
	v_fma_f16 v35, v76, s12, v35
	v_fma_f16 v51, v1, s10, v51
	v_fma_f16 v35, v3, s10, v35
	v_mul_f16_e32 v55, 0xb8b4, v51
	v_mul_f16_e32 v51, 0x3a79, v51
	v_fma_f16 v33, v33, -0.5, v69
	v_fma_f16 v55, v35, s15, v55
	v_fma_f16 v35, v35, s4, v51
	v_add_f16_e32 v51, v37, v52
	v_add_f16_e32 v56, v57, v39
	v_pack_b32_f16 v51, v51, v56
	v_fma_f16 v56, v66, s11, v54
	v_fma_f16 v58, v71, s5, v33
	;; [unrolled: 1-line block ×9, first 2 shown]
	v_add_f16_e32 v61, v56, v55
	v_add_f16_e32 v62, v58, v35
	v_fma_f16 v6, v6, s10, v33
	v_fma_f16 v33, v75, s5, v34
	v_fma_f16 v15, v80, s12, v15
	v_pack_b32_f16 v61, v61, v62
	v_fma_f16 v33, v76, s4, v33
	v_fma_f16 v1, v1, s10, v15
	ds_write2_b32 v49, v51, v61 offset1:100
	v_fma_f16 v51, v66, s5, v54
	v_fma_f16 v3, v3, s10, v33
	v_mul_f16_e32 v15, 0xb8b4, v1
	v_mul_f16_e32 v1, 0xba79, v1
	v_fma_f16 v51, v67, s4, v51
	v_fma_f16 v1, v3, s4, v1
	;; [unrolled: 1-line block ×4, first 2 shown]
	v_sub_f16_e32 v3, v37, v52
	v_add_f16_e32 v51, v6, v1
	v_sub_f16_e32 v1, v6, v1
	v_sub_f16_e32 v6, v60, v36
	;; [unrolled: 1-line block ×3, first 2 shown]
	v_add_f16_e32 v6, v6, v52
	v_add_f16_e32 v52, v36, v64
	v_fma_f16 v52, v52, -0.5, v53
	v_sub_f16_e32 v54, v9, v14
	v_sub_f16_e32 v33, v56, v55
	v_fma_f16 v55, v54, s11, v52
	v_sub_f16_e32 v56, v11, v2
	v_fma_f16 v52, v54, s5, v52
	v_fma_f16 v55, v56, s12, v55
	;; [unrolled: 1-line block ×3, first 2 shown]
	v_add_f16_e32 v37, v5, v15
	v_sub_f16_e32 v5, v5, v15
	v_sub_f16_e32 v15, v57, v39
	v_fma_f16 v55, v6, s10, v55
	v_fma_f16 v6, v6, s10, v52
	v_sub_f16_e32 v52, v36, v60
	v_sub_f16_e32 v57, v64, v0
	v_add_f16_e32 v52, v52, v57
	v_add_f16_e32 v57, v60, v0
	v_fma_f16 v57, v57, -0.5, v53
	v_sub_f16_e32 v35, v58, v35
	v_fma_f16 v58, v56, s5, v57
	v_fma_f16 v56, v56, s11, v57
	;; [unrolled: 1-line block ×6, first 2 shown]
	v_add_f16_e32 v54, v53, v60
	v_add_f16_e32 v54, v54, v36
	v_sub_f16_e32 v57, v9, v11
	v_sub_f16_e32 v58, v14, v2
	v_add_f16_e32 v54, v54, v64
	v_add_f16_e32 v57, v57, v58
	v_lshrrev_b32_e32 v53, 16, v53
	v_add_f16_e32 v58, v11, v2
	v_add_f16_e32 v54, v54, v0
	v_sub_f16_e32 v0, v60, v0
	v_fma_f16 v58, v58, -0.5, v53
	v_sub_f16_e32 v36, v36, v64
	v_fma_f16 v60, v0, s5, v58
	v_fma_f16 v58, v0, s11, v58
	;; [unrolled: 1-line block ×6, first 2 shown]
	v_add_f16_e32 v58, v9, v14
	v_fma_f16 v58, v58, -0.5, v53
	v_add_f16_e32 v53, v53, v9
	v_add_f16_e32 v53, v53, v11
	v_sub_f16_e32 v9, v11, v9
	v_add_f16_e32 v11, v53, v2
	v_sub_f16_e32 v2, v2, v14
	v_add_f16_e32 v11, v11, v14
	v_add_f16_e32 v2, v9, v2
	v_fma_f16 v9, v36, s11, v58
	v_fma_f16 v14, v36, s5, v58
	;; [unrolled: 1-line block ×6, first 2 shown]
	v_sub_f16_e32 v2, v38, v50
	v_sub_f16_e32 v14, v82, v65
	v_add_f16_e32 v2, v2, v14
	v_add_f16_e32 v14, v50, v65
	v_fma_f16 v14, v14, -0.5, v59
	v_sub_f16_e32 v36, v10, v7
	v_fma_f16 v53, v36, s11, v14
	v_sub_f16_e32 v58, v12, v4
	v_fma_f16 v14, v36, s5, v14
	v_fma_f16 v53, v58, s12, v53
	;; [unrolled: 1-line block ×5, first 2 shown]
	v_sub_f16_e32 v14, v50, v38
	v_sub_f16_e32 v61, v65, v82
	v_add_f16_e32 v14, v14, v61
	v_add_f16_e32 v61, v38, v82
	v_fma_f16 v61, v61, -0.5, v59
	v_fma_f16 v62, v58, s5, v61
	v_fma_f16 v58, v58, s11, v61
	;; [unrolled: 1-line block ×6, first 2 shown]
	v_add_f16_e32 v36, v59, v38
	v_sub_f16_e32 v59, v10, v12
	v_sub_f16_e32 v61, v7, v4
	v_add_f16_e32 v59, v59, v61
	v_add_f16_e32 v61, v12, v4
	v_sub_f16_e32 v38, v38, v82
	v_fma_f16 v61, v61, -0.5, v8
	v_add_f16_e32 v36, v36, v50
	v_sub_f16_e32 v50, v50, v65
	v_fma_f16 v62, v38, s5, v61
	v_fma_f16 v61, v38, s11, v61
	v_fma_f16 v62, v50, s4, v62
	v_fma_f16 v61, v50, s12, v61
	v_fma_f16 v62, v59, s10, v62
	v_fma_f16 v59, v59, s10, v61
	v_add_f16_e32 v61, v10, v7
	v_fma_f16 v61, v61, -0.5, v8
	v_add_f16_e32 v8, v8, v10
	v_add_f16_e32 v8, v8, v12
	v_sub_f16_e32 v10, v12, v10
	v_add_f16_e32 v8, v8, v4
	v_sub_f16_e32 v4, v4, v7
	v_add_f16_e32 v8, v8, v7
	v_add_f16_e32 v4, v10, v4
	v_fma_f16 v7, v50, s11, v61
	v_fma_f16 v10, v50, s5, v61
	;; [unrolled: 1-line block ×6, first 2 shown]
	v_sub_f16_e32 v34, v68, v78
	v_sub_f16_e32 v39, v73, v77
	v_mul_f16_e32 v50, 0xbb9c, v4
	v_mul_f16_e32 v4, 0xb4f2, v4
	v_pack_b32_f16 v37, v37, v51
	v_pack_b32_f16 v3, v3, v15
	v_add_u32_e32 v15, 0x400, v49
	v_sub_f16_e32 v13, v13, v81
	v_sub_f16_e32 v32, v32, v70
	v_add_f16_e32 v36, v36, v65
	v_mul_f16_e32 v10, 0xb8b4, v62
	v_mul_f16_e32 v12, 0x3a79, v62
	;; [unrolled: 1-line block ×3, first 2 shown]
	v_fma_f16 v50, v14, s13, v50
	v_fma_f16 v4, v14, s5, v4
	v_mul_f16_e32 v14, 0xb8b4, v59
	ds_write2_b32 v15, v37, v3 offset0:144 offset1:244
	v_pack_b32_f16 v3, v33, v35
	v_pack_b32_f16 v15, v34, v39
	v_add_u32_e32 v33, 0x800, v49
	v_add_f16_e32 v36, v36, v82
	v_fma_f16 v10, v53, s15, v10
	v_fma_f16 v12, v53, s4, v12
	;; [unrolled: 1-line block ×3, first 2 shown]
	v_mul_f16_e32 v7, 0x34f2, v7
	v_fma_f16 v14, v2, s14, v14
	v_mul_f16_e32 v53, 0xba79, v59
	ds_write2_b32 v33, v3, v15 offset0:88 offset1:188
	v_pack_b32_f16 v3, v13, v32
	v_pack_b32_f16 v1, v5, v1
	v_add_u32_e32 v5, 0xc00, v49
	v_fma_f16 v7, v58, s5, v7
	v_fma_f16 v2, v2, s4, v53
	v_add_f16_e32 v53, v54, v36
	v_sub_f16_e32 v36, v54, v36
	v_add_f16_e32 v54, v55, v10
	v_sub_f16_e32 v10, v55, v10
	;; [unrolled: 2-line block ×6, first 2 shown]
	v_add_f16_e32 v11, v60, v12
	ds_write2_b32 v5, v3, v1 offset0:32 offset1:132
	v_mul_u32_u24_e32 v1, 0xfa0, v30
	v_lshlrev_b32_e32 v3, 2, v48
	v_add_f16_e32 v58, v9, v7
	v_sub_f16_e32 v7, v9, v7
	v_add_f16_e32 v9, v0, v4
	v_add3_u32 v1, 0, v1, v3
	v_pack_b32_f16 v3, v53, v14
	v_pack_b32_f16 v5, v54, v11
	v_sub_f16_e32 v0, v0, v4
	v_add_f16_e32 v4, v57, v2
	ds_write2_b32 v1, v3, v5 offset1:100
	v_pack_b32_f16 v3, v55, v58
	v_pack_b32_f16 v5, v56, v9
	v_add_u32_e32 v9, 0x200, v1
	v_sub_f16_e32 v2, v57, v2
	ds_write2_b32 v9, v3, v5 offset0:72 offset1:172
	v_pack_b32_f16 v3, v52, v4
	v_pack_b32_f16 v4, v36, v8
	v_add_u32_e32 v5, 0x400, v1
	ds_write2_b32 v5, v3, v4 offset0:144 offset1:244
	v_add_u32_e32 v5, 0x800, v1
	v_pack_b32_f16 v0, v50, v0
	v_pack_b32_f16 v2, v6, v2
	v_add_u32_e32 v1, 0xc00, v1
	v_sub_f16_e32 v12, v60, v12
	ds_write2_b32 v1, v0, v2 offset0:32 offset1:132
	v_mul_u32_u24_e32 v0, 3, v18
	v_pack_b32_f16 v3, v10, v12
	v_pack_b32_f16 v4, v38, v7
	v_lshlrev_b32_e32 v0, 2, v0
	ds_write2_b32 v5, v3, v4 offset0:88 offset1:188
	s_waitcnt lgkmcnt(0)
	s_barrier
	global_load_dwordx3 v[4:6], v0, s[8:9] offset:3960
	v_mul_i32_i24_e32 v30, 3, v22
	v_lshl_add_u64 v[0:1], v[30:31], 2, s[8:9]
	global_load_dwordx3 v[8:10], v[0:1], off offset:3960
	v_mul_i32_i24_e32 v30, 3, v28
	v_lshl_add_u64 v[0:1], v[30:31], 2, s[8:9]
	global_load_dwordx3 v[12:14], v[0:1], off offset:3960
	;; [unrolled: 3-line block ×4, first 2 shown]
	ds_read_b32 v3, v40
	ds_read2_b32 v[0:1], v43 offset0:40 offset1:240
	ds_read2_b32 v[48:49], v44 offset0:24 offset1:224
	;; [unrolled: 1-line block ×6, first 2 shown]
	s_waitcnt lgkmcnt(5)
	v_lshrrev_b32_e32 v35, 16, v0
	s_waitcnt lgkmcnt(3)
	v_lshrrev_b32_e32 v11, 16, v51
	v_lshrrev_b32_e32 v7, 16, v48
	s_waitcnt lgkmcnt(2)
	v_lshrrev_b32_e32 v15, 16, v52
	;; [unrolled: 3-line block ×3, first 2 shown]
	v_lshrrev_b32_e32 v30, 16, v53
	v_lshl_add_u32 v2, v26, 2, 0
	s_add_u32 s4, s8, 0x3e58
	s_mov_b32 s10, 0xffff
	s_addc_u32 s5, s9, 0
	v_cmp_ne_u32_e32 vcc, 0, v18
	s_waitcnt vmcnt(4)
	v_mul_f16_sdwa v39, v4, v35 dst_sel:DWORD dst_unused:UNUSED_PAD src0_sel:WORD_1 src1_sel:DWORD
	v_fma_f16 v39, v4, v0, v39
	v_mul_f16_sdwa v0, v4, v0 dst_sel:DWORD dst_unused:UNUSED_PAD src0_sel:WORD_1 src1_sel:DWORD
	v_fma_f16 v0, v4, v35, -v0
	v_lshrrev_b32_e32 v4, 16, v55
	v_mul_f16_sdwa v35, v5, v4 dst_sel:DWORD dst_unused:UNUSED_PAD src0_sel:WORD_1 src1_sel:DWORD
	v_mul_f16_sdwa v43, v5, v55 dst_sel:DWORD dst_unused:UNUSED_PAD src0_sel:WORD_1 src1_sel:DWORD
	v_fma_f16 v35, v5, v55, v35
	v_fma_f16 v43, v5, v4, -v43
	v_lshrrev_b32_e32 v4, 16, v50
	v_mul_f16_sdwa v5, v6, v50 dst_sel:DWORD dst_unused:UNUSED_PAD src0_sel:WORD_1 src1_sel:DWORD
	v_fma_f16 v44, v6, v4, -v5
	v_mul_f16_sdwa v4, v6, v4 dst_sel:DWORD dst_unused:UNUSED_PAD src0_sel:WORD_1 src1_sel:DWORD
	v_fma_f16 v6, v6, v50, v4
	ds_read2_b32 v[4:5], v27 offset0:40 offset1:240
	v_lshrrev_b32_e32 v27, 16, v1
	s_waitcnt vmcnt(3)
	v_mul_f16_sdwa v50, v8, v27 dst_sel:DWORD dst_unused:UNUSED_PAD src0_sel:WORD_1 src1_sel:DWORD
	v_fma_f16 v50, v8, v1, v50
	v_mul_f16_sdwa v1, v8, v1 dst_sel:DWORD dst_unused:UNUSED_PAD src0_sel:WORD_1 src1_sel:DWORD
	v_fma_f16 v1, v8, v27, -v1
	v_mul_f16_sdwa v8, v11, v10 dst_sel:DWORD dst_unused:UNUSED_PAD src0_sel:DWORD src1_sel:WORD_1
	v_mul_f16_sdwa v27, v51, v10 dst_sel:DWORD dst_unused:UNUSED_PAD src0_sel:DWORD src1_sel:WORD_1
	v_fma_f16 v8, v51, v10, v8
	v_fma_f16 v10, v11, v10, -v27
	v_mul_f16_sdwa v11, v48, v9 dst_sel:DWORD dst_unused:UNUSED_PAD src0_sel:DWORD src1_sel:WORD_1
	v_fma_f16 v11, v7, v9, -v11
	v_mul_f16_sdwa v7, v7, v9 dst_sel:DWORD dst_unused:UNUSED_PAD src0_sel:DWORD src1_sel:WORD_1
	v_fma_f16 v7, v48, v9, v7
	s_waitcnt vmcnt(2)
	v_mul_f16_sdwa v9, v15, v12 dst_sel:DWORD dst_unused:UNUSED_PAD src0_sel:DWORD src1_sel:WORD_1
	v_mul_f16_sdwa v27, v52, v12 dst_sel:DWORD dst_unused:UNUSED_PAD src0_sel:DWORD src1_sel:WORD_1
	v_fma_f16 v9, v52, v12, v9
	v_fma_f16 v12, v15, v12, -v27
	v_mul_f16_sdwa v15, v23, v13 dst_sel:DWORD dst_unused:UNUSED_PAD src0_sel:DWORD src1_sel:WORD_1
	v_mul_f16_sdwa v27, v49, v13 dst_sel:DWORD dst_unused:UNUSED_PAD src0_sel:DWORD src1_sel:WORD_1
	v_fma_f16 v15, v49, v13, v15
	v_fma_f16 v13, v23, v13, -v27
	v_mul_f16_sdwa v23, v29, v14 dst_sel:DWORD dst_unused:UNUSED_PAD src0_sel:DWORD src1_sel:WORD_1
	v_mul_f16_sdwa v27, v46, v14 dst_sel:DWORD dst_unused:UNUSED_PAD src0_sel:DWORD src1_sel:WORD_1
	v_lshrrev_b32_e32 v51, 16, v47
	v_fma_f16 v23, v46, v14, v23
	v_fma_f16 v14, v29, v14, -v27
	s_waitcnt vmcnt(1)
	v_mul_f16_sdwa v29, v30, v32 dst_sel:DWORD dst_unused:UNUSED_PAD src0_sel:DWORD src1_sel:WORD_1
	v_mul_f16_sdwa v46, v53, v32 dst_sel:DWORD dst_unused:UNUSED_PAD src0_sel:DWORD src1_sel:WORD_1
	v_fma_f16 v29, v53, v32, v29
	v_fma_f16 v30, v30, v32, -v46
	v_mul_f16_sdwa v32, v51, v34 dst_sel:DWORD dst_unused:UNUSED_PAD src0_sel:DWORD src1_sel:WORD_1
	v_fma_f16 v32, v47, v34, v32
	v_mul_f16_sdwa v46, v47, v34 dst_sel:DWORD dst_unused:UNUSED_PAD src0_sel:DWORD src1_sel:WORD_1
	ds_read_b32 v47, v45
	ds_read_b32 v48, v2
	;; [unrolled: 1-line block ×4, first 2 shown]
	ds_read_b32 v53, v40 offset:15200
	s_waitcnt lgkmcnt(5)
	v_lshrrev_b32_e32 v55, 16, v4
	v_lshrrev_b32_e32 v27, 16, v54
	v_fma_f16 v34, v51, v34, -v46
	v_mul_f16_sdwa v46, v4, v33 dst_sel:DWORD dst_unused:UNUSED_PAD src0_sel:DWORD src1_sel:WORD_1
	v_fma_f16 v46, v55, v33, -v46
	v_mul_f16_sdwa v51, v55, v33 dst_sel:DWORD dst_unused:UNUSED_PAD src0_sel:DWORD src1_sel:WORD_1
	s_waitcnt vmcnt(0)
	v_mul_f16_sdwa v55, v27, v36 dst_sel:DWORD dst_unused:UNUSED_PAD src0_sel:DWORD src1_sel:WORD_1
	v_fma_f16 v4, v4, v33, v51
	v_lshrrev_b32_e32 v33, 16, v5
	v_fma_f16 v55, v54, v36, v55
	v_mul_f16_sdwa v54, v54, v36 dst_sel:DWORD dst_unused:UNUSED_PAD src0_sel:DWORD src1_sel:WORD_1
	v_fma_f16 v27, v27, v36, -v54
	v_mul_f16_sdwa v36, v33, v37 dst_sel:DWORD dst_unused:UNUSED_PAD src0_sel:DWORD src1_sel:WORD_1
	s_waitcnt lgkmcnt(0)
	v_lshrrev_b32_e32 v51, 16, v53
	v_fma_f16 v36, v5, v37, v36
	v_mul_f16_sdwa v5, v5, v37 dst_sel:DWORD dst_unused:UNUSED_PAD src0_sel:DWORD src1_sel:WORD_1
	v_fma_f16 v5, v33, v37, -v5
	v_mul_f16_sdwa v33, v51, v38 dst_sel:DWORD dst_unused:UNUSED_PAD src0_sel:DWORD src1_sel:WORD_1
	v_mul_f16_sdwa v37, v53, v38 dst_sel:DWORD dst_unused:UNUSED_PAD src0_sel:DWORD src1_sel:WORD_1
	v_fma_f16 v33, v53, v38, v33
	v_fma_f16 v37, v51, v38, -v37
	v_lshrrev_b32_e32 v38, 16, v3
	v_sub_f16_e32 v35, v3, v35
	v_sub_f16_e32 v43, v38, v43
	;; [unrolled: 1-line block ×4, first 2 shown]
	v_lshrrev_b32_e32 v51, 16, v47
	v_fma_f16 v3, v3, 2.0, -v35
	v_fma_f16 v38, v38, 2.0, -v43
	;; [unrolled: 1-line block ×4, first 2 shown]
	v_sub_f16_e32 v7, v47, v7
	v_sub_f16_e32 v11, v51, v11
	;; [unrolled: 1-line block ×6, first 2 shown]
	v_fma_f16 v47, v47, 2.0, -v7
	v_fma_f16 v51, v51, 2.0, -v11
	;; [unrolled: 1-line block ×6, first 2 shown]
	v_add_f16_e32 v44, v35, v44
	v_sub_f16_e32 v6, v43, v6
	v_sub_f16_e32 v50, v47, v50
	;; [unrolled: 1-line block ×3, first 2 shown]
	v_pack_b32_f16 v0, v39, v0
	v_fma_f16 v35, v35, 2.0, -v44
	v_fma_f16 v43, v43, 2.0, -v6
	;; [unrolled: 1-line block ×4, first 2 shown]
	v_add_f16_e32 v10, v7, v10
	v_sub_f16_e32 v8, v11, v8
	v_lshrrev_b32_e32 v53, 16, v52
	s_barrier
	v_pack_b32_f16 v3, v3, v38
	ds_write_b32 v40, v0 offset:8000
	v_pack_b32_f16 v0, v44, v6
	v_fma_f16 v7, v7, 2.0, -v10
	v_fma_f16 v11, v11, 2.0, -v8
	v_sub_f16_e32 v15, v52, v15
	v_sub_f16_e32 v13, v53, v13
	;; [unrolled: 1-line block ×4, first 2 shown]
	ds_write_b32 v40, v3
	v_pack_b32_f16 v3, v35, v43
	ds_write_b32 v40, v0 offset:12000
	v_pack_b32_f16 v0, v47, v51
	v_fma_f16 v52, v52, 2.0, -v15
	v_fma_f16 v53, v53, 2.0, -v13
	;; [unrolled: 1-line block ×4, first 2 shown]
	ds_write_b32 v40, v3 offset:4000
	ds_write_b32 v45, v0
	v_pack_b32_f16 v0, v7, v11
	v_sub_f16_e32 v9, v52, v9
	v_sub_f16_e32 v12, v53, v12
	ds_write_b32 v45, v0 offset:4000
	v_pack_b32_f16 v0, v50, v1
	v_fma_f16 v52, v52, 2.0, -v9
	v_fma_f16 v53, v53, 2.0, -v12
	v_add_f16_e32 v14, v15, v14
	v_sub_f16_e32 v23, v13, v23
	v_lshrrev_b32_e32 v54, 16, v48
	ds_write_b32 v45, v0 offset:8000
	v_pack_b32_f16 v0, v10, v8
	v_fma_f16 v15, v15, 2.0, -v14
	v_fma_f16 v13, v13, 2.0, -v23
	v_sub_f16_e32 v4, v48, v4
	v_sub_f16_e32 v46, v54, v46
	;; [unrolled: 1-line block ×4, first 2 shown]
	ds_write_b32 v45, v0 offset:12000
	v_pack_b32_f16 v0, v52, v53
	v_fma_f16 v48, v48, 2.0, -v4
	v_fma_f16 v54, v54, 2.0, -v46
	;; [unrolled: 1-line block ×4, first 2 shown]
	ds_write_b32 v41, v0
	v_pack_b32_f16 v0, v15, v13
	v_sub_f16_e32 v29, v48, v29
	v_sub_f16_e32 v30, v54, v30
	ds_write_b32 v41, v0 offset:4000
	v_pack_b32_f16 v0, v9, v12
	v_fma_f16 v48, v48, 2.0, -v29
	v_fma_f16 v54, v54, 2.0, -v30
	v_add_f16_e32 v34, v4, v34
	v_sub_f16_e32 v32, v46, v32
	v_lshrrev_b32_e32 v56, 16, v49
	ds_write_b32 v41, v0 offset:8000
	v_pack_b32_f16 v0, v14, v23
	v_fma_f16 v4, v4, 2.0, -v34
	v_fma_f16 v46, v46, 2.0, -v32
	v_sub_f16_e32 v36, v49, v36
	v_sub_f16_e32 v5, v56, v5
	;; [unrolled: 1-line block ×4, first 2 shown]
	ds_write_b32 v41, v0 offset:12000
	v_pack_b32_f16 v0, v48, v54
	v_fma_f16 v49, v49, 2.0, -v36
	v_fma_f16 v56, v56, 2.0, -v5
	;; [unrolled: 1-line block ×4, first 2 shown]
	ds_write_b32 v2, v0
	v_pack_b32_f16 v0, v4, v46
	v_sub_f16_e32 v55, v49, v55
	v_sub_f16_e32 v27, v56, v27
	ds_write_b32 v2, v0 offset:4000
	v_pack_b32_f16 v0, v29, v30
	v_fma_f16 v49, v49, 2.0, -v55
	v_fma_f16 v56, v56, 2.0, -v27
	v_add_f16_e32 v37, v36, v37
	v_sub_f16_e32 v33, v5, v33
	ds_write_b32 v2, v0 offset:8000
	v_pack_b32_f16 v0, v34, v32
	v_fma_f16 v36, v36, 2.0, -v37
	v_fma_f16 v5, v5, 2.0, -v33
	ds_write_b32 v2, v0 offset:12000
	v_pack_b32_f16 v0, v49, v56
	ds_write_b32 v42, v0
	v_pack_b32_f16 v0, v36, v5
	ds_write_b32 v42, v0 offset:4000
	v_pack_b32_f16 v0, v55, v27
	ds_write_b32 v42, v0 offset:8000
	;; [unrolled: 2-line block ×3, first 2 shown]
	s_waitcnt lgkmcnt(0)
	s_barrier
	ds_read_b32 v8, v40
	v_sub_u32_e32 v3, 0, v19
                                        ; implicit-def: $vgpr6
                                        ; implicit-def: $vgpr4
                                        ; implicit-def: $vgpr5
                                        ; implicit-def: $vgpr0_vgpr1
	s_and_saveexec_b64 s[8:9], vcc
	s_xor_b64 s[8:9], exec, s[8:9]
	s_cbranch_execz .LBB0_15
; %bb.14:
	v_mov_b32_e32 v19, v31
	v_lshl_add_u64 v[0:1], v[18:19], 2, s[4:5]
	global_load_dword v0, v[0:1], off
	ds_read_b32 v1, v3 offset:16000
	s_waitcnt lgkmcnt(0)
	v_pk_add_f16 v4, v8, v1 neg_lo:[0,1] neg_hi:[0,1]
	v_pk_add_f16 v1, v1, v8
                                        ; implicit-def: $vgpr8
	s_nop 0
	v_bfi_b32 v5, s10, v4, v1
	v_bfi_b32 v1, s10, v1, v4
	v_pk_mul_f16 v4, v5, 0.5 op_sel_hi:[1,0]
	v_pk_mul_f16 v5, v1, 0.5 op_sel_hi:[1,0]
	s_waitcnt vmcnt(0)
	v_pk_mul_f16 v6, v0, v4 op_sel:[1,0]
	v_pk_mul_f16 v0, v0, v4 op_sel_hi:[0,1]
	v_pk_fma_f16 v1, v1, 0.5, v6 op_sel_hi:[1,0,1]
	v_sub_f16_e32 v4, v5, v6
	v_sub_f16_sdwa v5, v6, v5 dst_sel:DWORD dst_unused:UNUSED_PAD src0_sel:WORD_1 src1_sel:WORD_1
	v_pk_add_f16 v6, v1, v0 op_sel:[0,1] op_sel_hi:[1,0]
	v_pk_add_f16 v1, v1, v0 op_sel:[0,1] op_sel_hi:[1,0] neg_lo:[0,1] neg_hi:[0,1]
	v_sub_f16_sdwa v4, v4, v0 dst_sel:DWORD dst_unused:UNUSED_PAD src0_sel:DWORD src1_sel:WORD_1
	v_sub_f16_e32 v5, v5, v0
	v_bfi_b32 v6, s10, v6, v1
	v_mov_b64_e32 v[0:1], v[18:19]
.LBB0_15:
	s_or_saveexec_b64 s[8:9], s[8:9]
	v_mul_i32_i24_e32 v7, 0xffffffdc, v22
	s_xor_b64 exec, exec, s[8:9]
	s_cbranch_execz .LBB0_17
; %bb.16:
	v_mov_b32_e32 v5, 0
	ds_read_u16 v0, v5 offset:8002
	s_waitcnt lgkmcnt(1)
	v_alignbit_b32 v1, s0, v8, 16
	v_pk_add_f16 v1, v1, v8
	v_sub_f16_sdwa v4, v8, v8 dst_sel:DWORD dst_unused:UNUSED_PAD src0_sel:DWORD src1_sel:WORD_1
	v_pack_b32_f16 v6, v1, 0
	s_waitcnt lgkmcnt(0)
	v_xor_b32_e32 v0, 0x8000, v0
	ds_write_b16 v5, v0 offset:8002
	v_mov_b64_e32 v[0:1], 0
.LBB0_17:
	s_or_b64 exec, exec, s[8:9]
	v_mov_b32_e32 v23, 0
	s_waitcnt lgkmcnt(0)
	v_lshl_add_u64 v[8:9], v[22:23], 2, s[4:5]
	global_load_dword v10, v[8:9], off
	v_mov_b32_e32 v29, v23
	v_lshl_add_u64 v[8:9], v[28:29], 2, s[4:5]
	global_load_dword v11, v[8:9], off
	v_mov_b32_e32 v27, v23
	v_lshl_add_u64 v[8:9], v[26:27], 2, s[4:5]
	global_load_dword v8, v[8:9], off
	v_add_u32_e32 v9, v25, v7
	v_mov_b32_e32 v25, v23
	ds_write_b16 v3, v5 offset:16002
	ds_write_b32 v40, v6
	ds_write_b16 v3, v4 offset:16000
	v_lshl_add_u64 v[6:7], v[24:25], 2, s[4:5]
	ds_read_b32 v12, v9
	ds_read_b32 v13, v3 offset:15200
	global_load_dword v6, v[6:7], off
	s_mov_b32 s8, 0xffff
	v_lshl_add_u64 v[0:1], v[0:1], 2, s[4:5]
	s_movk_i32 s9, 0x1000
	s_waitcnt lgkmcnt(0)
	v_pk_add_f16 v7, v12, v13 neg_lo:[0,1] neg_hi:[0,1]
	v_pk_add_f16 v12, v12, v13
	v_add_co_u32_e32 v4, vcc, s9, v0
	v_bfi_b32 v13, s8, v7, v12
	v_bfi_b32 v7, s8, v12, v7
	v_pk_mul_f16 v12, v13, 0.5 op_sel_hi:[1,0]
	v_pk_mul_f16 v7, v7, 0.5 op_sel_hi:[1,0]
	v_addc_co_u32_e32 v5, vcc, 0, v1, vcc
	s_waitcnt vmcnt(3)
	v_pk_fma_f16 v13, v10, v12, v7 op_sel:[1,0,0]
	v_pk_mul_f16 v14, v10, v12 op_sel_hi:[0,1]
	v_pk_fma_f16 v15, v10, v12, v7 op_sel:[1,0,0] neg_lo:[1,0,0] neg_hi:[1,0,0]
	v_pk_fma_f16 v7, v10, v12, v7 op_sel:[1,0,0] neg_lo:[0,0,1] neg_hi:[0,0,1]
	v_pk_add_f16 v10, v13, v14 op_sel:[0,1] op_sel_hi:[1,0]
	v_pk_add_f16 v12, v13, v14 op_sel:[0,1] op_sel_hi:[1,0] neg_lo:[0,1] neg_hi:[0,1]
	v_pk_add_f16 v13, v15, v14 op_sel:[0,1] op_sel_hi:[1,0] neg_lo:[0,1] neg_hi:[0,1]
	v_pk_add_f16 v7, v7, v14 op_sel:[0,1] op_sel_hi:[1,0] neg_lo:[0,1] neg_hi:[0,1]
	v_bfi_b32 v10, s8, v10, v12
	v_bfi_b32 v7, s8, v13, v7
	ds_write_b32 v9, v10
	ds_write_b32 v3, v7 offset:15200
	ds_read_b32 v7, v41
	ds_read_b32 v9, v3 offset:14400
	global_load_dword v10, v[0:1], off offset:4000
	global_load_dword v12, v[4:5], off offset:704
	;; [unrolled: 1-line block ×5, first 2 shown]
	s_waitcnt lgkmcnt(0)
	v_pk_add_f16 v0, v7, v9 neg_lo:[0,1] neg_hi:[0,1]
	v_pk_add_f16 v1, v7, v9
	s_nop 0
	v_bfi_b32 v4, s8, v0, v1
	v_bfi_b32 v0, s8, v1, v0
	v_pk_mul_f16 v1, v4, 0.5 op_sel_hi:[1,0]
	v_pk_mul_f16 v0, v0, 0.5 op_sel_hi:[1,0]
	s_waitcnt vmcnt(7)
	v_pk_mul_f16 v5, v11, v1 op_sel_hi:[0,1]
	v_pk_fma_f16 v4, v11, v1, v0 op_sel:[1,0,0]
	v_pk_fma_f16 v7, v11, v1, v0 op_sel:[1,0,0] neg_lo:[1,0,0] neg_hi:[1,0,0]
	v_pk_fma_f16 v0, v11, v1, v0 op_sel:[1,0,0] neg_lo:[0,0,1] neg_hi:[0,0,1]
	v_pk_add_f16 v1, v4, v5 op_sel:[0,1] op_sel_hi:[1,0]
	v_pk_add_f16 v4, v4, v5 op_sel:[0,1] op_sel_hi:[1,0] neg_lo:[0,1] neg_hi:[0,1]
	v_pk_add_f16 v7, v7, v5 op_sel:[0,1] op_sel_hi:[1,0] neg_lo:[0,1] neg_hi:[0,1]
	;; [unrolled: 1-line block ×3, first 2 shown]
	v_bfi_b32 v1, s8, v1, v4
	v_bfi_b32 v0, s8, v7, v0
	ds_write_b32 v41, v1
	ds_write_b32 v3, v0 offset:14400
	ds_read_b32 v0, v2
	ds_read_b32 v1, v3 offset:13600
	s_waitcnt lgkmcnt(0)
	v_pk_add_f16 v4, v0, v1 neg_lo:[0,1] neg_hi:[0,1]
	v_pk_add_f16 v0, v0, v1
	s_nop 0
	v_bfi_b32 v1, s8, v4, v0
	v_bfi_b32 v0, s8, v0, v4
	v_pk_mul_f16 v1, v1, 0.5 op_sel_hi:[1,0]
	v_pk_mul_f16 v0, v0, 0.5 op_sel_hi:[1,0]
	s_waitcnt vmcnt(6)
	v_pk_mul_f16 v5, v8, v1 op_sel_hi:[0,1]
	v_pk_fma_f16 v4, v8, v1, v0 op_sel:[1,0,0]
	v_pk_fma_f16 v7, v8, v1, v0 op_sel:[1,0,0] neg_lo:[1,0,0] neg_hi:[1,0,0]
	v_pk_fma_f16 v0, v8, v1, v0 op_sel:[1,0,0] neg_lo:[0,0,1] neg_hi:[0,0,1]
	v_pk_add_f16 v1, v4, v5 op_sel:[0,1] op_sel_hi:[1,0]
	v_pk_add_f16 v4, v4, v5 op_sel:[0,1] op_sel_hi:[1,0] neg_lo:[0,1] neg_hi:[0,1]
	v_pk_add_f16 v7, v7, v5 op_sel:[0,1] op_sel_hi:[1,0] neg_lo:[0,1] neg_hi:[0,1]
	;; [unrolled: 1-line block ×3, first 2 shown]
	v_bfi_b32 v1, s8, v1, v4
	v_bfi_b32 v0, s8, v7, v0
	ds_write_b32 v2, v1
	ds_write_b32 v3, v0 offset:13600
	ds_read_b32 v0, v42
	ds_read_b32 v1, v3 offset:12800
	s_waitcnt lgkmcnt(0)
	v_pk_add_f16 v2, v0, v1 neg_lo:[0,1] neg_hi:[0,1]
	v_pk_add_f16 v0, v0, v1
	s_nop 0
	v_bfi_b32 v1, s8, v2, v0
	v_bfi_b32 v0, s8, v0, v2
	v_pk_mul_f16 v1, v1, 0.5 op_sel_hi:[1,0]
	v_pk_mul_f16 v0, v0, 0.5 op_sel_hi:[1,0]
	s_waitcnt vmcnt(5)
	v_pk_mul_f16 v4, v6, v1 op_sel_hi:[0,1]
	v_pk_fma_f16 v2, v6, v1, v0 op_sel:[1,0,0]
	v_pk_fma_f16 v5, v6, v1, v0 op_sel:[1,0,0] neg_lo:[1,0,0] neg_hi:[1,0,0]
	v_pk_fma_f16 v0, v6, v1, v0 op_sel:[1,0,0] neg_lo:[0,0,1] neg_hi:[0,0,1]
	v_pk_add_f16 v1, v2, v4 op_sel:[0,1] op_sel_hi:[1,0]
	v_pk_add_f16 v2, v2, v4 op_sel:[0,1] op_sel_hi:[1,0] neg_lo:[0,1] neg_hi:[0,1]
	v_pk_add_f16 v5, v5, v4 op_sel:[0,1] op_sel_hi:[1,0] neg_lo:[0,1] neg_hi:[0,1]
	;; [unrolled: 1-line block ×3, first 2 shown]
	v_bfi_b32 v1, s8, v1, v2
	v_bfi_b32 v0, s8, v5, v0
	ds_write_b32 v42, v1
	ds_write_b32 v3, v0 offset:12800
	ds_read_b32 v0, v40 offset:4000
	ds_read_b32 v1, v3 offset:12000
	s_waitcnt lgkmcnt(0)
	v_pk_add_f16 v2, v0, v1 neg_lo:[0,1] neg_hi:[0,1]
	v_pk_add_f16 v0, v0, v1
	s_nop 0
	v_bfi_b32 v1, s8, v2, v0
	v_bfi_b32 v0, s8, v0, v2
	v_pk_mul_f16 v1, v1, 0.5 op_sel_hi:[1,0]
	v_pk_mul_f16 v2, v0, 0.5 op_sel_hi:[1,0]
	s_waitcnt vmcnt(4)
	v_pk_mul_f16 v4, v10, v1 op_sel:[1,0]
	v_pk_mul_f16 v1, v10, v1 op_sel_hi:[0,1]
	v_pk_fma_f16 v0, v0, 0.5, v4 op_sel_hi:[1,0,1]
	v_sub_f16_e32 v5, v2, v4
	v_sub_f16_sdwa v2, v4, v2 dst_sel:DWORD dst_unused:UNUSED_PAD src0_sel:WORD_1 src1_sel:WORD_1
	v_pk_add_f16 v4, v0, v1 op_sel:[0,1] op_sel_hi:[1,0]
	v_pk_add_f16 v0, v0, v1 op_sel:[0,1] op_sel_hi:[1,0] neg_lo:[0,1] neg_hi:[0,1]
	v_sub_f16_sdwa v5, v5, v1 dst_sel:DWORD dst_unused:UNUSED_PAD src0_sel:DWORD src1_sel:WORD_1
	v_sub_f16_e32 v1, v2, v1
	v_bfi_b32 v0, s8, v4, v0
	ds_write_b16 v3, v1 offset:12002
	ds_write_b32 v40, v0 offset:4000
	ds_write_b16 v3, v5 offset:12000
	ds_read_b32 v0, v40 offset:4800
	ds_read_b32 v1, v3 offset:11200
	s_waitcnt lgkmcnt(0)
	v_pk_add_f16 v2, v0, v1 neg_lo:[0,1] neg_hi:[0,1]
	v_pk_add_f16 v0, v0, v1
	s_nop 0
	v_bfi_b32 v1, s8, v2, v0
	v_bfi_b32 v0, s8, v0, v2
	v_pk_mul_f16 v1, v1, 0.5 op_sel_hi:[1,0]
	v_pk_mul_f16 v2, v0, 0.5 op_sel_hi:[1,0]
	s_waitcnt vmcnt(3)
	v_pk_mul_f16 v4, v12, v1 op_sel:[1,0]
	v_pk_mul_f16 v1, v12, v1 op_sel_hi:[0,1]
	v_pk_fma_f16 v0, v0, 0.5, v4 op_sel_hi:[1,0,1]
	v_sub_f16_e32 v5, v2, v4
	v_sub_f16_sdwa v2, v4, v2 dst_sel:DWORD dst_unused:UNUSED_PAD src0_sel:WORD_1 src1_sel:WORD_1
	v_pk_add_f16 v4, v0, v1 op_sel:[0,1] op_sel_hi:[1,0]
	v_pk_add_f16 v0, v0, v1 op_sel:[0,1] op_sel_hi:[1,0] neg_lo:[0,1] neg_hi:[0,1]
	v_sub_f16_sdwa v5, v5, v1 dst_sel:DWORD dst_unused:UNUSED_PAD src0_sel:DWORD src1_sel:WORD_1
	v_sub_f16_e32 v1, v2, v1
	v_bfi_b32 v0, s8, v4, v0
	ds_write_b16 v3, v1 offset:11202
	ds_write_b32 v40, v0 offset:4800
	ds_write_b16 v3, v5 offset:11200
	ds_read_b32 v0, v40 offset:5600
	ds_read_b32 v1, v3 offset:10400
	s_waitcnt lgkmcnt(0)
	v_pk_add_f16 v2, v0, v1 neg_lo:[0,1] neg_hi:[0,1]
	v_pk_add_f16 v0, v0, v1
	s_nop 0
	v_bfi_b32 v1, s8, v2, v0
	v_pk_mul_f16 v1, v1, 0.5 op_sel_hi:[1,0]
	v_bfi_b32 v0, s8, v0, v2
	s_waitcnt vmcnt(2)
	v_pk_mul_f16 v4, v13, v1 op_sel:[1,0]
	v_pk_mul_f16 v2, v0, 0.5 op_sel_hi:[1,0]
	v_pk_fma_f16 v0, v0, 0.5, v4 op_sel_hi:[1,0,1]
	v_pk_mul_f16 v1, v13, v1 op_sel_hi:[0,1]
	v_pk_add_f16 v5, v0, v1 op_sel:[0,1] op_sel_hi:[1,0]
	v_pk_add_f16 v0, v0, v1 op_sel:[0,1] op_sel_hi:[1,0] neg_lo:[0,1] neg_hi:[0,1]
	s_nop 0
	v_bfi_b32 v0, s8, v5, v0
	v_sub_f16_e32 v5, v2, v4
	v_sub_f16_sdwa v2, v4, v2 dst_sel:DWORD dst_unused:UNUSED_PAD src0_sel:WORD_1 src1_sel:WORD_1
	v_sub_f16_sdwa v5, v5, v1 dst_sel:DWORD dst_unused:UNUSED_PAD src0_sel:DWORD src1_sel:WORD_1
	v_sub_f16_e32 v1, v2, v1
	ds_write_b16 v3, v1 offset:10402
	ds_write_b32 v40, v0 offset:5600
	ds_write_b16 v3, v5 offset:10400
	ds_read_b32 v0, v40 offset:6400
	ds_read_b32 v1, v3 offset:9600
	s_waitcnt lgkmcnt(0)
	v_pk_add_f16 v2, v0, v1 neg_lo:[0,1] neg_hi:[0,1]
	v_pk_add_f16 v0, v0, v1
	s_nop 0
	v_bfi_b32 v1, s8, v2, v0
	v_pk_mul_f16 v1, v1, 0.5 op_sel_hi:[1,0]
	v_bfi_b32 v0, s8, v0, v2
	s_waitcnt vmcnt(1)
	v_pk_mul_f16 v4, v14, v1 op_sel:[1,0]
	v_pk_mul_f16 v2, v0, 0.5 op_sel_hi:[1,0]
	v_pk_fma_f16 v0, v0, 0.5, v4 op_sel_hi:[1,0,1]
	v_pk_mul_f16 v1, v14, v1 op_sel_hi:[0,1]
	v_pk_add_f16 v5, v0, v1 op_sel:[0,1] op_sel_hi:[1,0]
	v_pk_add_f16 v0, v0, v1 op_sel:[0,1] op_sel_hi:[1,0] neg_lo:[0,1] neg_hi:[0,1]
	s_nop 0
	v_bfi_b32 v0, s8, v5, v0
	v_sub_f16_e32 v5, v2, v4
	v_sub_f16_sdwa v2, v4, v2 dst_sel:DWORD dst_unused:UNUSED_PAD src0_sel:WORD_1 src1_sel:WORD_1
	v_sub_f16_sdwa v5, v5, v1 dst_sel:DWORD dst_unused:UNUSED_PAD src0_sel:DWORD src1_sel:WORD_1
	v_sub_f16_e32 v1, v2, v1
	ds_write_b16 v3, v1 offset:9602
	ds_write_b32 v40, v0 offset:6400
	ds_write_b16 v3, v5 offset:9600
	ds_read_b32 v0, v40 offset:7200
	ds_read_b32 v1, v3 offset:8800
	s_waitcnt lgkmcnt(0)
	v_pk_add_f16 v2, v0, v1 neg_lo:[0,1] neg_hi:[0,1]
	v_pk_add_f16 v0, v0, v1
	s_nop 0
	v_bfi_b32 v1, s8, v2, v0
	v_bfi_b32 v0, s8, v0, v2
	v_pk_mul_f16 v1, v1, 0.5 op_sel_hi:[1,0]
	v_pk_mul_f16 v0, v0, 0.5 op_sel_hi:[1,0]
	s_waitcnt vmcnt(0)
	v_pk_mul_f16 v4, v15, v1 op_sel_hi:[0,1]
	v_pk_fma_f16 v2, v15, v1, v0 op_sel:[1,0,0]
	s_nop 0
	v_pk_add_f16 v5, v2, v4 op_sel:[0,1] op_sel_hi:[1,0]
	v_pk_add_f16 v2, v2, v4 op_sel:[0,1] op_sel_hi:[1,0] neg_lo:[0,1] neg_hi:[0,1]
	s_nop 0
	v_bfi_b32 v2, s8, v5, v2
	v_pk_fma_f16 v5, v15, v1, v0 op_sel:[1,0,0] neg_lo:[1,0,0] neg_hi:[1,0,0]
	v_pk_fma_f16 v0, v15, v1, v0 op_sel:[1,0,0] neg_lo:[0,0,1] neg_hi:[0,0,1]
	v_pk_add_f16 v5, v5, v4 op_sel:[0,1] op_sel_hi:[1,0] neg_lo:[0,1] neg_hi:[0,1]
	v_pk_add_f16 v0, v0, v4 op_sel:[0,1] op_sel_hi:[1,0] neg_lo:[0,1] neg_hi:[0,1]
	ds_write_b32 v40, v2 offset:7200
	v_bfi_b32 v0, s8, v5, v0
	ds_write_b32 v3, v0 offset:8800
	s_waitcnt lgkmcnt(0)
	s_barrier
	s_and_saveexec_b64 s[4:5], s[0:1]
	s_cbranch_execz .LBB0_20
; %bb.18:
	v_mul_lo_u32 v2, s3, v20
	v_mul_lo_u32 v3, s2, v21
	v_mad_u64_u32 v[0:1], s[0:1], s2, v20, 0
	v_lshl_add_u32 v8, v18, 2, 0
	v_add3_u32 v1, v1, v3, v2
	ds_read2_b32 v[2:3], v8 offset1:200
	v_lshl_add_u64 v[0:1], v[0:1], 2, s[6:7]
	v_mov_b32_e32 v19, v23
	v_lshl_add_u64 v[0:1], v[16:17], 2, v[0:1]
	v_lshl_add_u64 v[4:5], v[18:19], 2, v[0:1]
	s_waitcnt lgkmcnt(0)
	global_store_dword v[4:5], v2, off
	v_add_u32_e32 v2, 0x600, v8
	ds_read2_b32 v[4:5], v2 offset0:16 offset1:216
	v_add_u32_e32 v22, 0xc8, v18
	v_lshl_add_u64 v[6:7], v[22:23], 2, v[0:1]
	v_add_u32_e32 v22, 0x190, v18
	global_store_dword v[6:7], v3, off
	v_lshl_add_u64 v[2:3], v[22:23], 2, v[0:1]
	s_waitcnt lgkmcnt(0)
	global_store_dword v[2:3], v4, off
	v_add_u32_e32 v2, 0xc00, v8
	ds_read2_b32 v[2:3], v2 offset0:32 offset1:232
	v_add_u32_e32 v22, 0x258, v18
	v_lshl_add_u64 v[6:7], v[22:23], 2, v[0:1]
	v_add_u32_e32 v22, 0x320, v18
	global_store_dword v[6:7], v5, off
	;; [unrolled: 9-line block ×3, first 2 shown]
	v_lshl_add_u64 v[2:3], v[22:23], 2, v[0:1]
	s_waitcnt lgkmcnt(0)
	global_store_dword v[2:3], v4, off
	v_add_u32_e32 v2, 0x1900, v8
	ds_read2_b32 v[2:3], v2 offset1:200
	v_add_u32_e32 v22, 0x578, v18
	v_lshl_add_u64 v[6:7], v[22:23], 2, v[0:1]
	v_add_u32_e32 v22, 0x640, v18
	global_store_dword v[6:7], v5, off
	v_lshl_add_u64 v[4:5], v[22:23], 2, v[0:1]
	s_waitcnt lgkmcnt(0)
	global_store_dword v[4:5], v2, off
	v_add_u32_e32 v2, 0x1f00, v8
	ds_read2_b32 v[4:5], v2 offset0:16 offset1:216
	v_add_u32_e32 v22, 0x708, v18
	v_lshl_add_u64 v[6:7], v[22:23], 2, v[0:1]
	v_add_u32_e32 v22, 0x7d0, v18
	global_store_dword v[6:7], v3, off
	v_lshl_add_u64 v[2:3], v[22:23], 2, v[0:1]
	s_waitcnt lgkmcnt(0)
	global_store_dword v[2:3], v4, off
	v_add_u32_e32 v2, 0x2500, v8
	ds_read2_b32 v[2:3], v2 offset0:32 offset1:232
	;; [unrolled: 9-line block ×3, first 2 shown]
	v_add_u32_e32 v22, 0xa28, v18
	v_lshl_add_u64 v[6:7], v[22:23], 2, v[0:1]
	v_add_u32_e32 v22, 0xaf0, v18
	global_store_dword v[6:7], v3, off
	v_lshl_add_u64 v[2:3], v[22:23], 2, v[0:1]
	s_waitcnt lgkmcnt(0)
	global_store_dword v[2:3], v4, off
	v_add_u32_e32 v2, 0x3200, v8
	ds_read2_b32 v[2:3], v2 offset1:200
	v_add_u32_e32 v22, 0xbb8, v18
	v_lshl_add_u64 v[6:7], v[22:23], 2, v[0:1]
	v_add_u32_e32 v22, 0xc80, v18
	global_store_dword v[6:7], v5, off
	v_lshl_add_u64 v[4:5], v[22:23], 2, v[0:1]
	s_waitcnt lgkmcnt(0)
	global_store_dword v[4:5], v2, off
	v_add_u32_e32 v2, 0x3800, v8
	ds_read2_b32 v[4:5], v2 offset0:16 offset1:216
	v_add_u32_e32 v22, 0xd48, v18
	v_lshl_add_u64 v[6:7], v[22:23], 2, v[0:1]
	v_add_u32_e32 v22, 0xe10, v18
	global_store_dword v[6:7], v3, off
	v_lshl_add_u64 v[2:3], v[22:23], 2, v[0:1]
	v_add_u32_e32 v22, 0xed8, v18
	s_movk_i32 s0, 0xc7
	s_waitcnt lgkmcnt(0)
	global_store_dword v[2:3], v4, off
	v_lshl_add_u64 v[2:3], v[22:23], 2, v[0:1]
	v_cmp_eq_u32_e32 vcc, s0, v18
	global_store_dword v[2:3], v5, off
	s_and_b64 exec, exec, vcc
	s_cbranch_execz .LBB0_20
; %bb.19:
	v_mov_b32_e32 v2, 0
	ds_read_b32 v2, v2 offset:16000
	v_add_co_u32_e32 v0, vcc, 0x3000, v0
	s_nop 1
	v_addc_co_u32_e32 v1, vcc, 0, v1, vcc
	s_waitcnt lgkmcnt(0)
	global_store_dword v[0:1], v2, off offset:3712
.LBB0_20:
	s_endpgm
	.section	.rodata,"a",@progbits
	.p2align	6, 0x0
	.amdhsa_kernel fft_rtc_back_len4000_factors_10_10_10_4_wgs_200_tpt_200_halfLds_half_op_CI_CI_unitstride_sbrr_R2C_dirReg
		.amdhsa_group_segment_fixed_size 0
		.amdhsa_private_segment_fixed_size 0
		.amdhsa_kernarg_size 104
		.amdhsa_user_sgpr_count 2
		.amdhsa_user_sgpr_dispatch_ptr 0
		.amdhsa_user_sgpr_queue_ptr 0
		.amdhsa_user_sgpr_kernarg_segment_ptr 1
		.amdhsa_user_sgpr_dispatch_id 0
		.amdhsa_user_sgpr_kernarg_preload_length 0
		.amdhsa_user_sgpr_kernarg_preload_offset 0
		.amdhsa_user_sgpr_private_segment_size 0
		.amdhsa_uses_dynamic_stack 0
		.amdhsa_enable_private_segment 0
		.amdhsa_system_sgpr_workgroup_id_x 1
		.amdhsa_system_sgpr_workgroup_id_y 0
		.amdhsa_system_sgpr_workgroup_id_z 0
		.amdhsa_system_sgpr_workgroup_info 0
		.amdhsa_system_vgpr_workitem_id 0
		.amdhsa_next_free_vgpr 91
		.amdhsa_next_free_sgpr 28
		.amdhsa_accum_offset 92
		.amdhsa_reserve_vcc 1
		.amdhsa_float_round_mode_32 0
		.amdhsa_float_round_mode_16_64 0
		.amdhsa_float_denorm_mode_32 3
		.amdhsa_float_denorm_mode_16_64 3
		.amdhsa_dx10_clamp 1
		.amdhsa_ieee_mode 1
		.amdhsa_fp16_overflow 0
		.amdhsa_tg_split 0
		.amdhsa_exception_fp_ieee_invalid_op 0
		.amdhsa_exception_fp_denorm_src 0
		.amdhsa_exception_fp_ieee_div_zero 0
		.amdhsa_exception_fp_ieee_overflow 0
		.amdhsa_exception_fp_ieee_underflow 0
		.amdhsa_exception_fp_ieee_inexact 0
		.amdhsa_exception_int_div_zero 0
	.end_amdhsa_kernel
	.text
.Lfunc_end0:
	.size	fft_rtc_back_len4000_factors_10_10_10_4_wgs_200_tpt_200_halfLds_half_op_CI_CI_unitstride_sbrr_R2C_dirReg, .Lfunc_end0-fft_rtc_back_len4000_factors_10_10_10_4_wgs_200_tpt_200_halfLds_half_op_CI_CI_unitstride_sbrr_R2C_dirReg
                                        ; -- End function
	.section	.AMDGPU.csdata,"",@progbits
; Kernel info:
; codeLenInByte = 14808
; NumSgprs: 34
; NumVgprs: 91
; NumAgprs: 0
; TotalNumVgprs: 91
; ScratchSize: 0
; MemoryBound: 0
; FloatMode: 240
; IeeeMode: 1
; LDSByteSize: 0 bytes/workgroup (compile time only)
; SGPRBlocks: 4
; VGPRBlocks: 11
; NumSGPRsForWavesPerEU: 34
; NumVGPRsForWavesPerEU: 91
; AccumOffset: 92
; Occupancy: 5
; WaveLimiterHint : 1
; COMPUTE_PGM_RSRC2:SCRATCH_EN: 0
; COMPUTE_PGM_RSRC2:USER_SGPR: 2
; COMPUTE_PGM_RSRC2:TRAP_HANDLER: 0
; COMPUTE_PGM_RSRC2:TGID_X_EN: 1
; COMPUTE_PGM_RSRC2:TGID_Y_EN: 0
; COMPUTE_PGM_RSRC2:TGID_Z_EN: 0
; COMPUTE_PGM_RSRC2:TIDIG_COMP_CNT: 0
; COMPUTE_PGM_RSRC3_GFX90A:ACCUM_OFFSET: 22
; COMPUTE_PGM_RSRC3_GFX90A:TG_SPLIT: 0
	.text
	.p2alignl 6, 3212836864
	.fill 256, 4, 3212836864
	.type	__hip_cuid_798bbe84ccfff882,@object ; @__hip_cuid_798bbe84ccfff882
	.section	.bss,"aw",@nobits
	.globl	__hip_cuid_798bbe84ccfff882
__hip_cuid_798bbe84ccfff882:
	.byte	0                               ; 0x0
	.size	__hip_cuid_798bbe84ccfff882, 1

	.ident	"AMD clang version 19.0.0git (https://github.com/RadeonOpenCompute/llvm-project roc-6.4.0 25133 c7fe45cf4b819c5991fe208aaa96edf142730f1d)"
	.section	".note.GNU-stack","",@progbits
	.addrsig
	.addrsig_sym __hip_cuid_798bbe84ccfff882
	.amdgpu_metadata
---
amdhsa.kernels:
  - .agpr_count:     0
    .args:
      - .actual_access:  read_only
        .address_space:  global
        .offset:         0
        .size:           8
        .value_kind:     global_buffer
      - .offset:         8
        .size:           8
        .value_kind:     by_value
      - .actual_access:  read_only
        .address_space:  global
        .offset:         16
        .size:           8
        .value_kind:     global_buffer
      - .actual_access:  read_only
        .address_space:  global
        .offset:         24
        .size:           8
        .value_kind:     global_buffer
      - .actual_access:  read_only
        .address_space:  global
        .offset:         32
        .size:           8
        .value_kind:     global_buffer
      - .offset:         40
        .size:           8
        .value_kind:     by_value
      - .actual_access:  read_only
        .address_space:  global
        .offset:         48
        .size:           8
        .value_kind:     global_buffer
      - .actual_access:  read_only
        .address_space:  global
        .offset:         56
        .size:           8
        .value_kind:     global_buffer
      - .offset:         64
        .size:           4
        .value_kind:     by_value
      - .actual_access:  read_only
        .address_space:  global
        .offset:         72
        .size:           8
        .value_kind:     global_buffer
      - .actual_access:  read_only
        .address_space:  global
        .offset:         80
        .size:           8
        .value_kind:     global_buffer
      - .actual_access:  read_only
        .address_space:  global
        .offset:         88
        .size:           8
        .value_kind:     global_buffer
      - .actual_access:  write_only
        .address_space:  global
        .offset:         96
        .size:           8
        .value_kind:     global_buffer
    .group_segment_fixed_size: 0
    .kernarg_segment_align: 8
    .kernarg_segment_size: 104
    .language:       OpenCL C
    .language_version:
      - 2
      - 0
    .max_flat_workgroup_size: 200
    .name:           fft_rtc_back_len4000_factors_10_10_10_4_wgs_200_tpt_200_halfLds_half_op_CI_CI_unitstride_sbrr_R2C_dirReg
    .private_segment_fixed_size: 0
    .sgpr_count:     34
    .sgpr_spill_count: 0
    .symbol:         fft_rtc_back_len4000_factors_10_10_10_4_wgs_200_tpt_200_halfLds_half_op_CI_CI_unitstride_sbrr_R2C_dirReg.kd
    .uniform_work_group_size: 1
    .uses_dynamic_stack: false
    .vgpr_count:     91
    .vgpr_spill_count: 0
    .wavefront_size: 64
amdhsa.target:   amdgcn-amd-amdhsa--gfx950
amdhsa.version:
  - 1
  - 2
...

	.end_amdgpu_metadata
